;; amdgpu-corpus repo=ROCm/rocFFT kind=compiled arch=gfx906 opt=O3
	.text
	.amdgcn_target "amdgcn-amd-amdhsa--gfx906"
	.amdhsa_code_object_version 6
	.protected	bluestein_single_fwd_len1960_dim1_sp_op_CI_CI ; -- Begin function bluestein_single_fwd_len1960_dim1_sp_op_CI_CI
	.globl	bluestein_single_fwd_len1960_dim1_sp_op_CI_CI
	.p2align	8
	.type	bluestein_single_fwd_len1960_dim1_sp_op_CI_CI,@function
bluestein_single_fwd_len1960_dim1_sp_op_CI_CI: ; @bluestein_single_fwd_len1960_dim1_sp_op_CI_CI
; %bb.0:
	s_load_dwordx4 s[8:11], s[4:5], 0x28
	s_mov_b64 s[22:23], s[2:3]
	v_mul_u32_u24_e32 v1, 0x493, v0
	v_mov_b32_e32 v52, 0
	s_mov_b64 s[20:21], s[0:1]
	v_add_u32_sdwa v250, s6, v1 dst_sel:DWORD dst_unused:UNUSED_PAD src0_sel:DWORD src1_sel:WORD_1
	v_mov_b32_e32 v251, v52
	s_add_u32 s20, s20, s7
	s_waitcnt lgkmcnt(0)
	v_cmp_gt_u64_e32 vcc, s[8:9], v[250:251]
	s_addc_u32 s21, s21, 0
	s_and_saveexec_b64 s[0:1], vcc
	s_cbranch_execz .LBB0_23
; %bb.1:
	s_load_dwordx4 s[0:3], s[4:5], 0x18
	v_mov_b32_e32 v2, 56
	v_mul_lo_u16_sdwa v1, v1, v2 dst_sel:DWORD dst_unused:UNUSED_PAD src0_sel:WORD_1 src1_sel:DWORD
	v_sub_u16_e32 v222, v0, v1
	v_mov_b32_e32 v7, s11
	s_waitcnt lgkmcnt(0)
	s_load_dwordx4 s[12:15], s[0:1], 0x0
	v_lshlrev_b32_e32 v255, 3, v222
	s_load_dwordx2 s[6:7], s[4:5], 0x38
	s_waitcnt lgkmcnt(0)
	v_mad_u64_u32 v[0:1], s[0:1], s14, v250, 0
	v_mad_u64_u32 v[2:3], s[0:1], s12, v222, 0
	s_mul_hi_u32 s17, s12, 0xffffd3d0
	s_mul_i32 s16, s13, 0xffffd3d0
	v_mad_u64_u32 v[4:5], s[0:1], s15, v250, v[1:2]
	s_load_dwordx2 s[14:15], s[4:5], 0x0
	v_mad_u64_u32 v[5:6], s[0:1], s13, v222, v[3:4]
	v_mov_b32_e32 v1, v4
	v_lshlrev_b64 v[0:1], 3, v[0:1]
	v_mov_b32_e32 v3, v5
	v_add_co_u32_e32 v6, vcc, s10, v0
	v_addc_co_u32_e32 v7, vcc, v7, v1, vcc
	v_lshlrev_b64 v[0:1], 3, v[2:3]
	s_waitcnt lgkmcnt(0)
	global_load_dwordx2 v[53:54], v255, s[14:15]
	v_add_co_u32_e32 v4, vcc, v6, v0
	v_addc_co_u32_e32 v5, vcc, v7, v1, vcc
	global_load_dwordx2 v[8:9], v[4:5], off
	v_mov_b32_e32 v0, s15
	v_add_co_u32_e32 v184, vcc, s14, v255
	s_movk_i32 s0, 0x1000
	v_addc_co_u32_e32 v185, vcc, 0, v0, vcc
	v_add_co_u32_e32 v0, vcc, s0, v184
	s_movk_i32 s1, 0x2000
	v_addc_co_u32_e32 v1, vcc, 0, v185, vcc
	s_load_dwordx4 s[8:11], s[2:3], 0x0
	v_add_co_u32_e32 v2, vcc, s1, v184
	s_mul_i32 s1, s13, 0x1ea
	s_mul_hi_u32 s3, s12, 0x1ea
	s_mul_i32 s2, s12, 0x1ea
	s_add_i32 s3, s3, s1
	v_addc_co_u32_e32 v3, vcc, 0, v185, vcc
	s_lshl_b64 s[2:3], s[2:3], 3
	v_mov_b32_e32 v50, s3
	v_add_co_u32_e32 v4, vcc, s2, v4
	v_addc_co_u32_e32 v5, vcc, v5, v50, vcc
	v_add_co_u32_e32 v10, vcc, s2, v4
	v_addc_co_u32_e32 v11, vcc, v5, v50, vcc
	global_load_dwordx2 v[55:56], v255, s[14:15] offset:3920
	global_load_dwordx2 v[69:70], v255, s[14:15] offset:448
	;; [unrolled: 1-line block ×4, first 2 shown]
	global_load_dwordx2 v[59:60], v[0:1], off offset:3744
	global_load_dwordx2 v[83:84], v[2:3], off offset:3568
	global_load_dwordx2 v[81:82], v[0:1], off offset:272
	global_load_dwordx2 v[77:78], v[2:3], off offset:96
	s_sub_i32 s1, s17, s12
	global_load_dwordx2 v[12:13], v[4:5], off
	global_load_dwordx2 v[14:15], v[10:11], off
	v_add_co_u32_e32 v4, vcc, s2, v10
	s_mul_i32 s0, s12, 0xffffd3d0
	s_add_i32 s1, s1, s16
	v_addc_co_u32_e32 v5, vcc, v11, v50, vcc
	v_mov_b32_e32 v16, s1
	global_load_dwordx2 v[10:11], v[4:5], off
	v_add_co_u32_e32 v4, vcc, s0, v4
	v_addc_co_u32_e32 v5, vcc, v5, v16, vcc
	global_load_dwordx2 v[16:17], v[4:5], off
	v_add_co_u32_e32 v4, vcc, s2, v4
	v_addc_co_u32_e32 v5, vcc, v5, v50, vcc
	;; [unrolled: 3-line block ×4, first 2 shown]
	global_load_dwordx2 v[22:23], v[4:5], off
	v_mov_b32_e32 v25, s1
	v_add_co_u32_e32 v4, vcc, s0, v4
	v_addc_co_u32_e32 v5, vcc, v5, v25, vcc
	global_load_dwordx2 v[26:27], v[4:5], off
	v_add_co_u32_e32 v4, vcc, s2, v4
	v_addc_co_u32_e32 v5, vcc, v5, v50, vcc
	global_load_dwordx2 v[79:80], v[2:3], off offset:4016
	global_load_dwordx2 v[28:29], v[4:5], off
	global_load_dwordx2 v[75:76], v[0:1], off offset:720
	v_add_co_u32_e32 v4, vcc, s2, v4
	v_addc_co_u32_e32 v5, vcc, v5, v50, vcc
	global_load_dwordx2 v[30:31], v[4:5], off
	global_load_dwordx2 v[73:74], v[2:3], off offset:544
	v_add_co_u32_e32 v4, vcc, s2, v4
	v_addc_co_u32_e32 v5, vcc, v5, v50, vcc
	s_movk_i32 s16, 0x3000
	v_add_co_u32_e32 v34, vcc, s16, v184
	v_addc_co_u32_e32 v35, vcc, 0, v185, vcc
	global_load_dwordx2 v[32:33], v[4:5], off
	v_add_co_u32_e32 v4, vcc, s0, v4
	v_addc_co_u32_e32 v5, vcc, v5, v25, vcc
	global_load_dwordx2 v[36:37], v[4:5], off
	v_add_co_u32_e32 v4, vcc, s2, v4
	v_addc_co_u32_e32 v5, vcc, v5, v50, vcc
	global_load_dwordx2 v[65:66], v[34:35], off offset:368
	global_load_dwordx2 v[38:39], v[4:5], off
	global_load_dwordx2 v[63:64], v[0:1], off offset:1168
	v_add_co_u32_e32 v4, vcc, s2, v4
	v_addc_co_u32_e32 v5, vcc, v5, v50, vcc
	global_load_dwordx2 v[40:41], v[4:5], off
	global_load_dwordx2 v[48:49], v[2:3], off offset:992
	v_add_co_u32_e32 v4, vcc, s2, v4
	s_waitcnt vmcnt(28)
	v_mul_f32_e32 v24, v9, v54
	v_addc_co_u32_e32 v5, vcc, v5, v50, vcc
	v_fmac_f32_e32 v24, v8, v53
	global_load_dwordx2 v[42:43], v[4:5], off
	global_load_dwordx2 v[67:68], v[34:35], off offset:816
	v_mul_f32_e32 v8, v8, v54
	buffer_store_dword v53, off, s[20:23], 0 offset:168 ; 4-byte Folded Spill
	s_nop 0
	buffer_store_dword v54, off, s[20:23], 0 offset:172 ; 4-byte Folded Spill
	v_add_co_u32_e32 v4, vcc, s0, v4
	v_fma_f32 v25, v9, v53, -v8
	s_waitcnt vmcnt(23)
	v_mul_f32_e32 v8, v13, v56
	v_fmac_f32_e32 v8, v12, v55
	v_mul_f32_e32 v9, v12, v56
	buffer_store_dword v55, off, s[20:23], 0 offset:176 ; 4-byte Folded Spill
	s_nop 0
	buffer_store_dword v56, off, s[20:23], 0 offset:180 ; 4-byte Folded Spill
	s_waitcnt vmcnt(20)
	v_mul_f32_e32 v12, v21, v78
	v_fmac_f32_e32 v12, v20, v77
	v_fma_f32 v9, v13, v55, -v9
	ds_write_b64 v255, v[8:9] offset:3920
	v_mul_f32_e32 v8, v15, v60
	global_load_dwordx2 v[61:62], v[0:1], off offset:2064
	global_load_dwordx2 v[57:58], v[0:1], off offset:2512
	;; [unrolled: 1-line block ×3, first 2 shown]
	v_fmac_f32_e32 v8, v14, v59
	v_mul_f32_e32 v9, v14, v60
	buffer_store_dword v59, off, s[20:23], 0 offset:248 ; 4-byte Folded Spill
	s_nop 0
	buffer_store_dword v60, off, s[20:23], 0 offset:252 ; 4-byte Folded Spill
	s_waitcnt vmcnt(22)
	v_mul_f32_e32 v14, v23, v80
	v_fmac_f32_e32 v14, v22, v79
	v_fma_f32 v9, v15, v59, -v9
	ds_write_b64 v255, v[8:9] offset:7840
	v_mul_f32_e32 v8, v11, v84
	global_load_dwordx2 v[71:72], v[2:3], off offset:1888
	global_load_dwordx2 v[59:60], v[2:3], off offset:2336
	;; [unrolled: 1-line block ×3, first 2 shown]
	v_fmac_f32_e32 v8, v10, v83
	v_mul_f32_e32 v9, v10, v84
	buffer_store_dword v83, off, s[20:23], 0 offset:240 ; 4-byte Folded Spill
	s_nop 0
	buffer_store_dword v84, off, s[20:23], 0 offset:244 ; 4-byte Folded Spill
	v_mul_f32_e32 v10, v19, v82
	v_fmac_f32_e32 v10, v18, v81
	v_fma_f32 v9, v11, v83, -v9
	ds_write_b64 v255, v[8:9] offset:11760
	v_mul_f32_e32 v8, v17, v70
	v_fmac_f32_e32 v8, v16, v69
	v_mul_f32_e32 v9, v16, v70
	buffer_store_dword v69, off, s[20:23], 0 offset:128 ; 4-byte Folded Spill
	s_nop 0
	buffer_store_dword v70, off, s[20:23], 0 offset:132 ; 4-byte Folded Spill
	global_load_dwordx2 v[83:84], v[0:1], off offset:1616
	v_mul_f32_e32 v16, v27, v47
	v_fmac_f32_e32 v16, v26, v46
	v_fma_f32 v9, v17, v69, -v9
	ds_write2_b64 v255, v[24:25], v[8:9] offset1:56
	v_mul_f32_e32 v8, v18, v82
	buffer_store_dword v81, off, s[20:23], 0 offset:200 ; 4-byte Folded Spill
	s_nop 0
	buffer_store_dword v82, off, s[20:23], 0 offset:204 ; 4-byte Folded Spill
	s_waitcnt vmcnt(30)
	v_mul_f32_e32 v18, v29, v76
	v_fmac_f32_e32 v18, v28, v75
	v_add_u32_e32 v9, 0x1000, v255
	v_fma_f32 v11, v19, v81, -v8
	global_load_dwordx2 v[81:82], v[2:3], off offset:1440
	v_mul_f32_e32 v8, v20, v78
	buffer_store_dword v77, off, s[20:23], 0 offset:184 ; 4-byte Folded Spill
	s_nop 0
	buffer_store_dword v78, off, s[20:23], 0 offset:188 ; 4-byte Folded Spill
	v_fma_f32 v13, v21, v77, -v8
	v_mul_f32_e32 v8, v22, v80
	buffer_store_dword v79, off, s[20:23], 0 offset:192 ; 4-byte Folded Spill
	s_nop 0
	buffer_store_dword v80, off, s[20:23], 0 offset:196 ; 4-byte Folded Spill
	v_fma_f32 v15, v23, v79, -v8
	;; [unrolled: 5-line block ×4, first 2 shown]
	ds_write2_b64 v9, v[10:11], v[18:19] offset0:34 offset1:90
	s_waitcnt vmcnt(37)
	v_mul_f32_e32 v10, v31, v74
	v_fmac_f32_e32 v10, v30, v73
	v_mul_f32_e32 v8, v30, v74
	buffer_store_dword v73, off, s[20:23], 0 offset:144 ; 4-byte Folded Spill
	s_nop 0
	buffer_store_dword v74, off, s[20:23], 0 offset:148 ; 4-byte Folded Spill
	v_fma_f32 v11, v31, v73, -v8
	v_add_u32_e32 v8, 0x2000, v255
	ds_write2_b64 v8, v[12:13], v[10:11] offset0:12 offset1:68
	s_waitcnt vmcnt(36)
	v_mul_f32_e32 v10, v33, v66
	global_load_dwordx2 v[77:78], v[34:35], off offset:1264
	global_load_dwordx2 v[73:74], v[34:35], off offset:1712
	v_fmac_f32_e32 v10, v32, v65
	v_mul_f32_e32 v11, v32, v66
	buffer_store_dword v65, off, s[20:23], 0 offset:120 ; 4-byte Folded Spill
	s_nop 0
	buffer_store_dword v66, off, s[20:23], 0 offset:124 ; 4-byte Folded Spill
	v_add_u32_e32 v12, 0x2c00, v255
	s_waitcnt vmcnt(36)
	v_mul_f32_e32 v13, v40, v49
	v_fma_f32 v11, v33, v65, -v11
	ds_write2_b64 v12, v[14:15], v[10:11] offset0:118 offset1:174
	v_mul_f32_e32 v10, v37, v45
	v_fmac_f32_e32 v10, v36, v44
	v_mul_f32_e32 v11, v36, v45
	buffer_store_dword v44, off, s[20:23], 0 offset:56 ; 4-byte Folded Spill
	s_nop 0
	buffer_store_dword v45, off, s[20:23], 0 offset:60 ; 4-byte Folded Spill
	v_mul_f32_e32 v12, v41, v49
	v_fmac_f32_e32 v12, v40, v48
	v_mov_b32_e32 v15, s1
	v_addc_co_u32_e32 v5, vcc, v5, v15, vcc
	s_waitcnt vmcnt(36)
	v_mul_f32_e32 v14, v43, v68
	v_fmac_f32_e32 v14, v42, v67
	v_fma_f32 v11, v37, v44, -v11
	ds_write2_b64 v255, v[16:17], v[10:11] offset0:112 offset1:168
	v_mul_f32_e32 v10, v39, v64
	v_fmac_f32_e32 v10, v38, v63
	v_mul_f32_e32 v11, v38, v64
	buffer_store_dword v63, off, s[20:23], 0 offset:104 ; 4-byte Folded Spill
	s_nop 0
	buffer_store_dword v64, off, s[20:23], 0 offset:108 ; 4-byte Folded Spill
	buffer_store_dword v48, off, s[20:23], 0 offset:88 ; 4-byte Folded Spill
	s_nop 0
	buffer_store_dword v49, off, s[20:23], 0 offset:92 ; 4-byte Folded Spill
	global_load_dwordx2 v[16:17], v[4:5], off
	global_load_dwordx2 v[85:86], v255, s[14:15] offset:1792
	v_add_co_u32_e32 v4, vcc, s2, v4
	v_addc_co_u32_e32 v5, vcc, v5, v50, vcc
	global_load_dwordx2 v[18:19], v[4:5], off
	v_add_co_u32_e32 v4, vcc, s2, v4
	v_addc_co_u32_e32 v5, vcc, v5, v50, vcc
	global_load_dwordx2 v[20:21], v[4:5], off
	v_add_co_u32_e32 v4, vcc, s2, v4
	v_addc_co_u32_e32 v5, vcc, v5, v50, vcc
	global_load_dwordx2 v[22:23], v[4:5], off
	v_add_co_u32_e32 v4, vcc, s0, v4
	v_addc_co_u32_e32 v5, vcc, v5, v15, vcc
	global_load_dwordx2 v[24:25], v[4:5], off
	global_load_dwordx2 v[79:80], v255, s[14:15] offset:2240
	v_add_co_u32_e32 v4, vcc, s2, v4
	v_addc_co_u32_e32 v5, vcc, v5, v50, vcc
	global_load_dwordx2 v[26:27], v[4:5], off
	v_add_co_u32_e32 v4, vcc, s2, v4
	v_addc_co_u32_e32 v5, vcc, v5, v50, vcc
	global_load_dwordx2 v[28:29], v[4:5], off
	;; [unrolled: 3-line block ×4, first 2 shown]
	global_load_dwordx2 v[75:76], v255, s[14:15] offset:2688
	v_add_co_u32_e32 v4, vcc, s2, v4
	v_addc_co_u32_e32 v5, vcc, v5, v50, vcc
	global_load_dwordx2 v[36:37], v[4:5], off
	v_add_co_u32_e32 v4, vcc, s2, v4
	v_addc_co_u32_e32 v5, vcc, v5, v50, vcc
	v_fma_f32 v11, v39, v63, -v11
	global_load_dwordx2 v[38:39], v[4:5], off
	v_add_co_u32_e32 v4, vcc, s2, v4
	v_addc_co_u32_e32 v5, vcc, v5, v50, vcc
	v_fma_f32 v13, v41, v48, -v13
	global_load_dwordx2 v[40:41], v[4:5], off
	global_load_dwordx2 v[69:70], v[34:35], off offset:2160
	v_add_co_u32_e32 v4, vcc, s0, v4
	v_addc_co_u32_e32 v5, vcc, v5, v15, vcc
	global_load_dwordx2 v[44:45], v[4:5], off
	global_load_dwordx2 v[65:66], v255, s[14:15] offset:3136
	v_add_co_u32_e32 v4, vcc, s2, v4
	v_addc_co_u32_e32 v5, vcc, v5, v50, vcc
	global_load_dwordx2 v[46:47], v[4:5], off
	v_add_co_u32_e32 v4, vcc, s2, v4
	v_addc_co_u32_e32 v5, vcc, v5, v50, vcc
	global_load_dwordx2 v[48:49], v[4:5], off
	;; [unrolled: 3-line block ×3, first 2 shown]
	global_load_dwordx2 v[63:64], v[34:35], off offset:2608
	s_waitcnt vmcnt(20)
	v_mul_f32_e32 v34, v17, v86
	v_mul_f32_e32 v15, v42, v68
	buffer_store_dword v67, off, s[20:23], 0 offset:72 ; 4-byte Folded Spill
	s_nop 0
	buffer_store_dword v68, off, s[20:23], 0 offset:76 ; 4-byte Folded Spill
	v_fmac_f32_e32 v34, v16, v85
	v_mul_f32_e32 v16, v16, v86
	buffer_store_dword v85, off, s[20:23], 0 offset:256 ; 4-byte Folded Spill
	s_nop 0
	buffer_store_dword v86, off, s[20:23], 0 offset:260 ; 4-byte Folded Spill
	s_mov_b64 s[0:1], 0x1ea
	v_fma_f32 v15, v43, v67, -v15
	v_fma_f32 v35, v17, v85, -v16
	s_waitcnt vmcnt(23)
	v_mul_f32_e32 v16, v19, v84
	v_fmac_f32_e32 v16, v18, v83
	v_mul_f32_e32 v17, v18, v84
	buffer_store_dword v83, off, s[20:23], 0 offset:232 ; 4-byte Folded Spill
	s_nop 0
	buffer_store_dword v84, off, s[20:23], 0 offset:236 ; 4-byte Folded Spill
	v_fma_f32 v17, v19, v83, -v17
	ds_write2_b64 v9, v[10:11], v[16:17] offset0:146 offset1:202
	s_waitcnt vmcnt(24)
	v_mul_f32_e32 v10, v21, v82
	v_fmac_f32_e32 v10, v20, v81
	v_mul_f32_e32 v11, v20, v82
	buffer_store_dword v81, off, s[20:23], 0 offset:208 ; 4-byte Folded Spill
	s_nop 0
	buffer_store_dword v82, off, s[20:23], 0 offset:212 ; 4-byte Folded Spill
	s_waitcnt vmcnt(20)
	v_mul_f32_e32 v17, v31, v74
	v_fmac_f32_e32 v17, v30, v73
	s_waitcnt vmcnt(18)
	v_mul_f32_e32 v19, v33, v76
	v_fmac_f32_e32 v19, v32, v75
	v_fma_f32 v11, v21, v81, -v11
	ds_write2_b64 v8, v[12:13], v[10:11] offset0:124 offset1:180
	v_mul_f32_e32 v11, v23, v78
	v_fmac_f32_e32 v11, v22, v77
	v_mul_f32_e32 v10, v22, v78
	buffer_store_dword v77, off, s[20:23], 0 offset:216 ; 4-byte Folded Spill
	s_nop 0
	buffer_store_dword v78, off, s[20:23], 0 offset:220 ; 4-byte Folded Spill
	s_waitcnt vmcnt(19)
	v_mul_f32_e32 v21, v37, v58
	v_fmac_f32_e32 v21, v36, v57
	v_fma_f32 v12, v23, v77, -v10
	v_add_u32_e32 v10, 0x3000, v255
	ds_write2_b64 v10, v[14:15], v[11:12] offset0:102 offset1:158
	v_mul_f32_e32 v12, v25, v80
	v_fmac_f32_e32 v12, v24, v79
	v_mul_f32_e32 v11, v24, v80
	buffer_store_dword v79, off, s[20:23], 0 offset:224 ; 4-byte Folded Spill
	s_nop 0
	buffer_store_dword v80, off, s[20:23], 0 offset:228 ; 4-byte Folded Spill
	v_mul_f32_e32 v15, v29, v72
	v_fmac_f32_e32 v15, v28, v71
	v_fma_f32 v13, v25, v79, -v11
	v_add_u32_e32 v11, 0x400, v255
	ds_write2_b64 v11, v[34:35], v[12:13] offset0:96 offset1:152
	v_mul_f32_e32 v13, v27, v62
	v_fmac_f32_e32 v13, v26, v61
	v_mul_f32_e32 v12, v26, v62
	buffer_store_dword v61, off, s[20:23], 0 offset:40 ; 4-byte Folded Spill
	s_nop 0
	buffer_store_dword v62, off, s[20:23], 0 offset:44 ; 4-byte Folded Spill
	v_fma_f32 v14, v27, v61, -v12
	v_mul_f32_e32 v12, v28, v72
	buffer_store_dword v71, off, s[20:23], 0 offset:112 ; 4-byte Folded Spill
	s_nop 0
	buffer_store_dword v72, off, s[20:23], 0 offset:116 ; 4-byte Folded Spill
	v_fma_f32 v16, v29, v71, -v12
	;; [unrolled: 5-line block ×5, first 2 shown]
	v_add_u32_e32 v12, 0x1800, v255
	ds_write2_b64 v12, v[13:14], v[21:22] offset0:2 offset1:58
	s_waitcnt vmcnt(30)
	v_mul_f32_e32 v13, v39, v60
	v_fmac_f32_e32 v13, v38, v59
	v_mul_f32_e32 v14, v38, v60
	buffer_store_dword v59, off, s[20:23], 0 offset:32 ; 4-byte Folded Spill
	s_nop 0
	buffer_store_dword v60, off, s[20:23], 0 offset:36 ; 4-byte Folded Spill
	v_add_u32_e32 v21, 0x2400, v255
	v_fma_f32 v14, v39, v59, -v14
	ds_write2_b64 v21, v[15:16], v[13:14] offset0:108 offset1:164
	s_waitcnt vmcnt(30)
	v_mul_f32_e32 v13, v41, v70
	v_fmac_f32_e32 v13, v40, v69
	v_mul_f32_e32 v14, v40, v70
	buffer_store_dword v69, off, s[20:23], 0 offset:96 ; 4-byte Folded Spill
	s_nop 0
	buffer_store_dword v70, off, s[20:23], 0 offset:100 ; 4-byte Folded Spill
	v_add_u32_e32 v15, 0x3400, v255
	v_fma_f32 v14, v41, v69, -v14
	ds_write2_b64 v15, v[17:18], v[13:14] offset0:86 offset1:142
	s_waitcnt vmcnt(30)
	v_mul_f32_e32 v14, v45, v66
	v_fmac_f32_e32 v14, v44, v65
	v_mul_f32_e32 v13, v44, v66
	buffer_store_dword v65, off, s[20:23], 0 offset:64 ; 4-byte Folded Spill
	s_nop 0
	buffer_store_dword v66, off, s[20:23], 0 offset:68 ; 4-byte Folded Spill
	v_fma_f32 v15, v45, v65, -v13
	v_add_u32_e32 v13, 0x800, v255
	ds_write2_b64 v13, v[19:20], v[14:15] offset0:80 offset1:136
	s_waitcnt vmcnt(31)
	v_mul_f32_e32 v14, v47, v56
	v_fmac_f32_e32 v14, v46, v55
	v_mul_f32_e32 v15, v46, v56
	buffer_store_dword v55, off, s[20:23], 0 offset:16 ; 4-byte Folded Spill
	s_nop 0
	buffer_store_dword v56, off, s[20:23], 0 offset:20 ; 4-byte Folded Spill
	v_fma_f32 v15, v47, v55, -v15
	ds_write_b64 v255, v[14:15] offset:7056
	s_waitcnt vmcnt(32)
	v_mul_f32_e32 v14, v49, v54
	v_fmac_f32_e32 v14, v48, v53
	v_mul_f32_e32 v15, v48, v54
	buffer_store_dword v53, off, s[20:23], 0 offset:8 ; 4-byte Folded Spill
	s_nop 0
	buffer_store_dword v54, off, s[20:23], 0 offset:12 ; 4-byte Folded Spill
	v_fma_f32 v15, v49, v53, -v15
	ds_write_b64 v255, v[14:15] offset:10976
	s_waitcnt vmcnt(32)
	v_mul_f32_e32 v14, v51, v64
	v_fmac_f32_e32 v14, v50, v63
	v_mul_f32_e32 v15, v50, v64
	buffer_store_dword v63, off, s[20:23], 0 offset:48 ; 4-byte Folded Spill
	s_nop 0
	buffer_store_dword v64, off, s[20:23], 0 offset:52 ; 4-byte Folded Spill
	v_fma_f32 v15, v51, v63, -v15
	v_or_b32_e32 v51, 0x1c0, v222
	v_cmp_gt_u64_e64 s[0:1], s[0:1], v[51:52]
	ds_write_b64 v255, v[14:15] offset:14896
	s_mov_b64 s[16:17], exec
	s_and_b64 s[18:19], s[16:17], s[0:1]
	v_mov_b32_e32 v127, v51
	s_mov_b64 exec, s[18:19]
	s_cbranch_execz .LBB0_3
; %bb.2:
	v_mad_u64_u32 v[14:15], s[18:19], s12, v127, 0
	v_mov_b32_e32 v17, 0xffffe320
	v_mad_u64_u32 v[4:5], s[18:19], s12, v17, v[4:5]
	v_mad_u64_u32 v[15:16], s[18:19], s13, v127, v[15:16]
	s_mulk_i32 s13, 0xe320
	s_sub_i32 s12, s13, s12
	v_add_u32_e32 v5, s12, v5
	global_load_dwordx2 v[16:17], v[4:5], off
	v_mov_b32_e32 v26, s3
	v_add_co_u32_e32 v4, vcc, s2, v4
	v_addc_co_u32_e32 v5, vcc, v5, v26, vcc
	global_load_dwordx2 v[18:19], v[4:5], off
	global_load_dwordx2 v[20:21], v[184:185], off offset:3584
	global_load_dwordx2 v[22:23], v[0:1], off offset:3408
	global_load_dwordx2 v[24:25], v[2:3], off offset:3232
	v_add_co_u32_e32 v0, vcc, s2, v4
	v_addc_co_u32_e32 v1, vcc, v5, v26, vcc
	v_lshlrev_b64 v[14:15], 3, v[14:15]
	v_add_co_u32_e32 v2, vcc, 0x3000, v184
	v_addc_co_u32_e32 v3, vcc, 0, v185, vcc
	v_add_co_u32_e32 v4, vcc, v6, v14
	global_load_dwordx2 v[0:1], v[0:1], off
	v_addc_co_u32_e32 v5, vcc, v7, v15, vcc
	global_load_dwordx2 v[2:3], v[2:3], off offset:3056
	s_waitcnt vmcnt(3)
	v_mul_f32_e32 v6, v17, v23
	global_load_dwordx2 v[4:5], v[4:5], off
	v_mul_f32_e32 v7, v16, v23
	v_fmac_f32_e32 v6, v16, v22
	v_fma_f32 v7, v17, v22, -v7
	ds_write_b64 v255, v[6:7] offset:7504
	s_waitcnt vmcnt(3)
	v_mul_f32_e32 v14, v19, v25
	v_mul_f32_e32 v15, v18, v25
	v_fmac_f32_e32 v14, v18, v24
	v_fma_f32 v15, v19, v24, -v15
	ds_write_b64 v255, v[14:15] offset:11424
	s_waitcnt vmcnt(1)
	v_mul_f32_e32 v6, v1, v3
	v_mul_f32_e32 v3, v0, v3
	v_fmac_f32_e32 v6, v0, v2
	v_fma_f32 v7, v1, v2, -v3
	s_waitcnt vmcnt(0)
	v_mul_f32_e32 v0, v5, v21
	v_mul_f32_e32 v1, v4, v21
	v_fmac_f32_e32 v0, v4, v20
	v_fma_f32 v1, v5, v20, -v1
	ds_write_b64 v255, v[0:1] offset:3584
	ds_write_b64 v255, v[6:7] offset:15344
.LBB0_3:
	s_or_b64 exec, exec, s[16:17]
	v_add_u32_e32 v0, 0xc00, v255
	s_waitcnt lgkmcnt(0)
	; wave barrier
	s_waitcnt lgkmcnt(0)
	ds_read2_b64 v[52:55], v0 offset0:106 offset1:162
	v_add_u32_e32 v0, 0x1c00, v255
	ds_read2_b64 v[56:59], v0 offset0:84 offset1:140
	v_add_u32_e32 v14, 0x2800, v255
	v_add_u32_e32 v0, 0x1400, v255
	ds_read2_b64 v[48:51], v255 offset1:56
	ds_read2_b64 v[60:63], v14 offset0:190 offset1:246
	ds_read2_b64 v[36:39], v255 offset0:112 offset1:168
	ds_read2_b64 v[32:35], v9 offset0:90 offset1:146
	ds_read2_b64 v[44:47], v8 offset0:68 offset1:124
	ds_read2_b64 v[40:43], v10 offset0:46 offset1:102
	ds_read2_b64 v[16:19], v11 offset0:96 offset1:152
	ds_read2_b64 v[20:23], v0 offset0:74 offset1:130
	ds_read2_b64 v[28:31], v8 offset0:180 offset1:236
	ds_read2_b64 v[24:27], v10 offset0:158 offset1:214
	ds_read2_b64 v[4:7], v13 offset0:80 offset1:136
	ds_read2_b64 v[0:3], v12 offset0:58 offset1:114
	ds_read2_b64 v[8:11], v14 offset0:36 offset1:92
	v_add_u32_e32 v12, 0x3800, v255
	s_load_dwordx2 s[4:5], s[4:5], 0x8
	ds_read2_b64 v[12:15], v12 offset0:14 offset1:70
                                        ; implicit-def: $vgpr68
                                        ; implicit-def: $vgpr70
                                        ; implicit-def: $vgpr66
                                        ; implicit-def: $vgpr64
	s_and_saveexec_b64 s[2:3], s[0:1]
	s_cbranch_execz .LBB0_5
; %bb.4:
	ds_read_b64 v[64:65], v255 offset:3584
	ds_read_b64 v[66:67], v255 offset:7504
	;; [unrolled: 1-line block ×4, first 2 shown]
.LBB0_5:
	s_or_b64 exec, exec, s[2:3]
	s_waitcnt lgkmcnt(0)
	v_sub_f32_e32 v56, v48, v56
	v_sub_f32_e32 v57, v49, v57
	;; [unrolled: 1-line block ×4, first 2 shown]
	v_fma_f32 v48, v48, 2.0, -v56
	v_fma_f32 v49, v49, 2.0, -v57
	;; [unrolled: 1-line block ×4, first 2 shown]
	v_sub_f32_e32 v74, v56, v61
	v_add_f32_e32 v75, v57, v60
	v_sub_f32_e32 v72, v48, v52
	v_sub_f32_e32 v73, v49, v53
	v_fma_f32 v78, v56, 2.0, -v74
	v_fma_f32 v79, v57, 2.0, -v75
	v_sub_f32_e32 v56, v50, v58
	v_sub_f32_e32 v57, v51, v59
	;; [unrolled: 1-line block ×4, first 2 shown]
	v_fma_f32 v76, v48, 2.0, -v72
	v_fma_f32 v77, v49, 2.0, -v73
	;; [unrolled: 1-line block ×6, first 2 shown]
	v_sub_f32_e32 v48, v50, v48
	v_sub_f32_e32 v49, v51, v49
	;; [unrolled: 1-line block ×6, first 2 shown]
	v_fma_f32 v52, v50, 2.0, -v48
	v_fma_f32 v53, v51, 2.0, -v49
	v_sub_f32_e32 v50, v56, v59
	v_add_f32_e32 v51, v57, v58
	v_fma_f32 v36, v36, 2.0, -v44
	v_fma_f32 v37, v37, 2.0, -v45
	;; [unrolled: 1-line block ×6, first 2 shown]
	v_sub_f32_e32 v56, v36, v32
	v_sub_f32_e32 v57, v37, v33
	v_sub_f32_e32 v58, v44, v41
	v_add_f32_e32 v59, v45, v40
	v_sub_f32_e32 v40, v38, v46
	v_sub_f32_e32 v41, v39, v47
	v_fma_f32 v60, v36, 2.0, -v56
	v_fma_f32 v61, v37, 2.0, -v57
	;; [unrolled: 1-line block ×4, first 2 shown]
	v_sub_f32_e32 v38, v34, v42
	v_sub_f32_e32 v39, v35, v43
	v_sub_f32_e32 v28, v16, v28
	v_sub_f32_e32 v24, v20, v24
	v_fma_f32 v32, v34, 2.0, -v38
	v_sub_f32_e32 v34, v40, v39
	v_sub_f32_e32 v29, v17, v29
	v_fma_f32 v16, v16, 2.0, -v28
	v_sub_f32_e32 v25, v21, v25
	v_fma_f32 v20, v20, 2.0, -v24
	v_fma_f32 v33, v35, 2.0, -v39
	v_add_f32_e32 v35, v41, v38
	v_fma_f32 v38, v40, 2.0, -v34
	v_fma_f32 v17, v17, 2.0, -v29
	;; [unrolled: 1-line block ×3, first 2 shown]
	v_sub_f32_e32 v40, v16, v20
	v_add_f32_e32 v43, v29, v24
	v_sub_f32_e32 v24, v18, v30
	v_sub_f32_e32 v26, v22, v26
	v_fma_f32 v62, v44, 2.0, -v58
	v_fma_f32 v39, v41, 2.0, -v35
	v_sub_f32_e32 v41, v17, v21
	v_fma_f32 v44, v16, 2.0, -v40
	v_sub_f32_e32 v42, v28, v25
	v_sub_f32_e32 v25, v19, v31
	v_fma_f32 v18, v18, 2.0, -v24
	v_sub_f32_e32 v27, v23, v27
	v_fma_f32 v16, v22, 2.0, -v26
	v_fma_f32 v63, v45, 2.0, -v59
	;; [unrolled: 1-line block ×5, first 2 shown]
	v_sub_f32_e32 v16, v18, v16
	v_sub_f32_e32 v8, v4, v8
	;; [unrolled: 1-line block ×3, first 2 shown]
	s_movk_i32 s2, 0xa8
	v_sub_f32_e32 v17, v19, v17
	v_fma_f32 v20, v18, 2.0, -v16
	v_sub_f32_e32 v18, v24, v27
	v_sub_f32_e32 v9, v5, v9
	v_fma_f32 v4, v4, 2.0, -v8
	v_sub_f32_e32 v13, v1, v13
	v_fma_f32 v0, v0, 2.0, -v12
	v_add_co_u32_e32 v87, vcc, 56, v222
	v_add_co_u32_e32 v99, vcc, s2, v222
	s_movk_i32 s2, 0xe0
	v_fma_f32 v21, v19, 2.0, -v17
	v_add_f32_e32 v19, v25, v26
	v_fma_f32 v22, v24, 2.0, -v18
	v_fma_f32 v5, v5, 2.0, -v9
	;; [unrolled: 1-line block ×3, first 2 shown]
	v_sub_f32_e32 v24, v4, v0
	v_sub_f32_e32 v0, v6, v10
	;; [unrolled: 1-line block ×3, first 2 shown]
	v_lshlrev_b32_e32 v14, 5, v222
	v_add_co_u32_e32 v101, vcc, 0x70, v222
	v_add_co_u32_e32 v96, vcc, s2, v222
	s_movk_i32 s2, 0x118
	v_fma_f32 v23, v25, 2.0, -v19
	v_sub_f32_e32 v25, v5, v1
	v_sub_f32_e32 v1, v7, v11
	;; [unrolled: 1-line block ×3, first 2 shown]
	s_waitcnt lgkmcnt(0)
	; wave barrier
	ds_write_b128 v14, v[76:79]
	ds_write_b128 v14, v[72:75] offset:16
	v_lshlrev_b32_e32 v14, 5, v87
	v_add_co_u32_e32 v86, vcc, s2, v222
	s_movk_i32 s2, 0x150
	v_sub_f32_e32 v32, v36, v32
	v_sub_f32_e32 v33, v37, v33
	v_fma_f32 v6, v6, 2.0, -v0
	v_fma_f32 v7, v7, 2.0, -v1
	;; [unrolled: 1-line block ×4, first 2 shown]
	ds_write_b128 v14, v[52:55]
	buffer_store_dword v14, off, s[20:23], 0 offset:264 ; 4-byte Folded Spill
	ds_write_b128 v14, v[48:51] offset:16
	v_lshlrev_b32_e32 v14, 5, v101
	v_add_co_u32_e32 v85, vcc, s2, v222
	s_movk_i32 s2, 0x188
	v_fma_f32 v36, v36, 2.0, -v32
	v_fma_f32 v37, v37, 2.0, -v33
	;; [unrolled: 1-line block ×6, first 2 shown]
	v_sub_f32_e32 v26, v8, v13
	v_add_f32_e32 v27, v9, v12
	v_sub_f32_e32 v4, v6, v2
	v_sub_f32_e32 v5, v7, v3
	ds_write_b128 v14, v[60:63]
	buffer_store_dword v14, off, s[20:23], 0 offset:268 ; 4-byte Folded Spill
	ds_write_b128 v14, v[56:59] offset:16
	v_lshlrev_b32_e32 v14, 5, v99
	v_add_co_u32_e32 v84, vcc, s2, v222
	v_fma_f32 v30, v8, 2.0, -v26
	v_fma_f32 v31, v9, 2.0, -v27
	;; [unrolled: 1-line block ×4, first 2 shown]
	v_sub_f32_e32 v6, v0, v11
	v_add_f32_e32 v7, v1, v10
	ds_write_b128 v14, v[36:39]
	buffer_store_dword v14, off, s[20:23], 0 offset:272 ; 4-byte Folded Spill
	ds_write_b128 v14, v[32:35] offset:16
	v_lshlrev_b32_e32 v154, 5, v96
	v_lshlrev_b32_e32 v14, 5, v86
	v_fma_f32 v10, v0, 2.0, -v6
	v_fma_f32 v11, v1, 2.0, -v7
	v_sub_f32_e32 v0, v64, v70
	v_sub_f32_e32 v2, v65, v71
	;; [unrolled: 1-line block ×4, first 2 shown]
	ds_write_b128 v154, v[44:47]
	ds_write_b128 v154, v[40:43] offset:16
	ds_write_b128 v14, v[20:23]
	buffer_store_dword v14, off, s[20:23], 0 offset:280 ; 4-byte Folded Spill
	ds_write_b128 v14, v[16:19] offset:16
	v_lshlrev_b32_e32 v244, 5, v85
	v_lshlrev_b32_e32 v14, 5, v84
	v_sub_f32_e32 v12, v0, v3
	v_add_f32_e32 v13, v1, v2
	ds_write_b128 v244, v[28:31]
	ds_write_b128 v244, v[24:27] offset:16
	ds_write_b128 v14, v[4:7] offset:16
	v_lshlrev_b32_e32 v4, 5, v127
	ds_write_b128 v14, v[8:11]
	buffer_store_dword v14, off, s[20:23], 0 offset:288 ; 4-byte Folded Spill
	buffer_store_dword v4, off, s[20:23], 0 offset:396 ; 4-byte Folded Spill
	s_and_saveexec_b64 s[2:3], s[0:1]
	s_cbranch_execz .LBB0_7
; %bb.6:
	v_fma_f32 v5, v2, 2.0, -v13
	v_fma_f32 v4, v0, 2.0, -v12
	;; [unrolled: 1-line block ×6, first 2 shown]
	v_sub_f32_e32 v11, v2, v3
	v_sub_f32_e32 v10, v0, v1
	v_fma_f32 v3, v2, 2.0, -v11
	v_fma_f32 v2, v0, 2.0, -v10
	v_lshlrev_b32_e32 v0, 5, v127
	ds_write_b128 v0, v[2:5]
	ds_write_b128 v0, v[10:13] offset:16
.LBB0_7:
	s_or_b64 exec, exec, s[2:3]
	v_and_b32_e32 v26, 3, v222
	v_mul_u32_u24_e32 v0, 6, v26
	v_lshlrev_b32_e32 v14, 3, v0
	s_waitcnt lgkmcnt(0)
	; wave barrier
	s_waitcnt lgkmcnt(0)
	global_load_dwordx4 v[8:11], v14, s[4:5]
	global_load_dwordx4 v[4:7], v14, s[4:5] offset:16
	global_load_dwordx4 v[0:3], v14, s[4:5] offset:32
	ds_read2_b64 v[27:30], v255 offset1:56
	v_add_u32_e32 v23, 0x400, v255
	v_add_u32_e32 v19, 0x1000, v255
	;; [unrolled: 1-line block ×7, first 2 shown]
	ds_read2_b64 v[31:34], v255 offset0:112 offset1:168
	v_add_u32_e32 v24, 0x2400, v255
	v_add_u32_e32 v50, 0x3800, v255
	;; [unrolled: 1-line block ×3, first 2 shown]
	ds_read_b64 v[47:48], v255 offset:15232
	ds_read2_b64 v[14:17], v23 offset0:96 offset1:152
	ds_read2_b64 v[35:38], v19 offset0:48 offset1:104
	;; [unrolled: 1-line block ×11, first 2 shown]
	ds_read2_b64 v[79:82], v50 offset1:56
	ds_read2_b64 v[88:91], v21 offset0:192 offset1:248
	ds_read2_b64 v[102:105], v49 offset0:112 offset1:168
	ds_read2_b64 v[106:109], v20 offset0:32 offset1:88
	s_mov_b32 s2, 0x3f5ff5aa
	s_mov_b32 s12, 0x3f3bfb3b
	;; [unrolled: 1-line block ×4, first 2 shown]
	s_waitcnt lgkmcnt(0)
	; wave barrier
	s_waitcnt lgkmcnt(0)
	v_lshlrev_b32_e32 v95, 2, v222
	v_lshlrev_b32_e32 v94, 2, v87
	s_waitcnt vmcnt(2)
	v_mul_f32_e32 v83, v16, v9
	v_mul_f32_e32 v92, v36, v11
	s_waitcnt vmcnt(1)
	v_mul_f32_e32 v97, v42, v5
	s_waitcnt vmcnt(0)
	v_mul_f32_e32 v111, v54, v1
	v_mul_f32_e32 v117, v38, v11
	;; [unrolled: 1-line block ×8, first 2 shown]
	v_fmac_f32_e32 v83, v17, v8
	v_fma_f32 v17, v35, v10, -v92
	v_fma_f32 v35, v41, v4, -v97
	;; [unrolled: 1-line block ×4, first 2 shown]
	v_mul_f32_e32 v37, v62, v9
	v_mul_f32_e32 v116, v59, v9
	v_fma_f32 v16, v16, v8, -v49
	v_fma_f32 v49, v59, v8, -v115
	;; [unrolled: 1-line block ×3, first 2 shown]
	v_mul_f32_e32 v37, v72, v11
	v_mul_f32_e32 v119, v64, v5
	v_fmac_f32_e32 v116, v60, v8
	v_mul_f32_e32 v60, v61, v9
	v_fma_f32 v61, v71, v10, -v37
	v_mul_f32_e32 v37, v66, v5
	v_mul_f32_e32 v120, v63, v5
	v_fmac_f32_e32 v112, v54, v0
	v_fma_f32 v54, v63, v4, -v119
	v_fma_f32 v63, v65, v4, -v37
	v_mul_f32_e32 v37, v76, v7
	v_mul_f32_e32 v122, v45, v7
	;; [unrolled: 1-line block ×3, first 2 shown]
	v_fmac_f32_e32 v120, v64, v4
	v_mul_f32_e32 v64, v65, v5
	v_fma_f32 v65, v75, v6, -v37
	v_mul_f32_e32 v37, v70, v1
	v_mul_f32_e32 v121, v46, v7
	;; [unrolled: 1-line block ×3, first 2 shown]
	v_fmac_f32_e32 v122, v46, v6
	v_fma_f32 v46, v67, v0, -v123
	v_fma_f32 v67, v69, v0, -v37
	v_mul_f32_e32 v37, v80, v3
	v_fmac_f32_e32 v124, v68, v0
	v_mul_f32_e32 v68, v69, v1
	v_fma_f32 v69, v79, v2, -v37
	v_mul_f32_e32 v37, v89, v9
	v_fmac_f32_e32 v60, v62, v8
	v_mul_f32_e32 v62, v71, v11
	;; [unrolled: 4-line block ×3, first 2 shown]
	v_fma_f32 v75, v73, v10, -v37
	v_mul_f32_e32 v73, v73, v11
	v_mul_f32_e32 v37, v103, v5
	v_fmac_f32_e32 v73, v74, v10
	v_fma_f32 v74, v102, v4, -v37
	v_mul_f32_e32 v37, v78, v7
	v_fmac_f32_e32 v68, v70, v0
	v_mul_f32_e32 v70, v79, v3
	v_fma_f32 v79, v77, v6, -v37
	v_mul_f32_e32 v77, v77, v7
	v_mul_f32_e32 v37, v107, v1
	v_fmac_f32_e32 v77, v78, v6
	v_fma_f32 v78, v106, v0, -v37
	v_mul_f32_e32 v37, v82, v3
	v_fmac_f32_e32 v62, v72, v10
	v_mul_f32_e32 v72, v88, v9
	v_fma_f32 v88, v81, v2, -v37
	v_mul_f32_e32 v81, v81, v3
	v_mul_f32_e32 v37, v91, v9
	v_fmac_f32_e32 v81, v82, v2
	v_fma_f32 v82, v90, v8, -v37
	v_mul_f32_e32 v90, v90, v9
	v_mul_f32_e32 v37, v40, v11
	v_fmac_f32_e32 v90, v91, v8
	v_fma_f32 v91, v39, v10, -v37
	v_mul_f32_e32 v37, v105, v5
	v_fma_f32 v97, v104, v4, -v37
	v_mul_f32_e32 v37, v52, v7
	v_mul_f32_e32 v100, v44, v7
	;; [unrolled: 1-line block ×3, first 2 shown]
	v_fmac_f32_e32 v66, v76, v6
	v_mul_f32_e32 v76, v102, v5
	v_fma_f32 v102, v51, v6, -v37
	v_mul_f32_e32 v37, v109, v1
	v_mul_f32_e32 v114, v55, v3
	v_fmac_f32_e32 v93, v36, v10
	v_fmac_f32_e32 v98, v42, v4
	v_fma_f32 v36, v43, v6, -v100
	v_fma_f32 v42, v55, v2, -v113
	v_mul_f32_e32 v92, v39, v11
	v_mul_f32_e32 v100, v104, v5
	v_fma_f32 v104, v108, v0, -v37
	v_mul_f32_e32 v37, v48, v3
	v_mul_f32_e32 v110, v43, v7
	v_fmac_f32_e32 v114, v56, v2
	v_fmac_f32_e32 v70, v80, v2
	v_mul_f32_e32 v80, v106, v1
	v_fmac_f32_e32 v92, v40, v10
	v_fma_f32 v106, v47, v2, -v37
	v_add_f32_e32 v37, v16, v42
	v_add_f32_e32 v40, v17, v41
	v_fmac_f32_e32 v110, v44, v6
	v_fmac_f32_e32 v118, v38, v10
	;; [unrolled: 1-line block ×3, first 2 shown]
	v_mul_f32_e32 v107, v47, v3
	v_add_f32_e32 v38, v83, v114
	v_sub_f32_e32 v16, v16, v42
	v_add_f32_e32 v42, v93, v112
	v_sub_f32_e32 v17, v17, v41
	;; [unrolled: 2-line block ×3, first 2 shown]
	v_add_f32_e32 v47, v40, v37
	v_mul_f32_e32 v126, v57, v3
	v_fmac_f32_e32 v76, v103, v4
	v_mul_f32_e32 v103, v51, v7
	v_fmac_f32_e32 v107, v48, v2
	v_sub_f32_e32 v41, v93, v112
	v_add_f32_e32 v44, v98, v110
	v_sub_f32_e32 v36, v110, v98
	v_add_f32_e32 v48, v42, v38
	v_sub_f32_e32 v51, v40, v37
	v_sub_f32_e32 v37, v37, v43
	;; [unrolled: 1-line block ×3, first 2 shown]
	v_add_f32_e32 v56, v35, v17
	v_add_f32_e32 v43, v43, v47
	v_mul_f32_e32 v125, v58, v3
	v_fmac_f32_e32 v126, v58, v2
	v_fmac_f32_e32 v72, v89, v8
	;; [unrolled: 1-line block ×3, first 2 shown]
	v_sub_f32_e32 v39, v83, v114
	v_sub_f32_e32 v52, v42, v38
	;; [unrolled: 1-line block ×8, first 2 shown]
	v_add_f32_e32 v44, v44, v48
	v_add_f32_e32 v47, v56, v16
	;; [unrolled: 1-line block ×3, first 2 shown]
	v_fma_f32 v55, v57, v2, -v125
	v_add_f32_e32 v57, v36, v41
	v_sub_f32_e32 v41, v41, v39
	v_add_f32_e32 v17, v28, v44
	v_mul_f32_e32 v56, 0xbf08b237, v83
	v_mov_b32_e32 v83, v16
	v_sub_f32_e32 v36, v39, v36
	v_mul_f32_e32 v27, 0x3f4a47b2, v37
	v_mul_f32_e32 v28, 0x3f4a47b2, v38
	;; [unrolled: 1-line block ×6, first 2 shown]
	v_fmac_f32_e32 v83, 0xbf955555, v43
	v_mov_b32_e32 v43, v17
	v_add_f32_e32 v39, v57, v39
	v_mul_f32_e32 v57, 0x3f5ff5aa, v89
	v_fmac_f32_e32 v43, 0xbf955555, v44
	v_fma_f32 v37, v51, s12, -v37
	v_fma_f32 v38, v52, s12, -v38
	;; [unrolled: 1-line block ×3, first 2 shown]
	v_fmac_f32_e32 v27, 0x3d64c772, v40
	v_fma_f32 v40, v52, s3, -v28
	v_fma_f32 v41, v41, s2, -v56
	;; [unrolled: 1-line block ×3, first 2 shown]
	v_fmac_f32_e32 v28, 0x3d64c772, v42
	v_fma_f32 v42, v89, s2, -v48
	v_fmac_f32_e32 v48, 0x3eae86e6, v35
	v_fmac_f32_e32 v56, 0x3eae86e6, v36
	v_fma_f32 v51, v35, s13, -v57
	v_add_f32_e32 v89, v37, v83
	v_add_f32_e32 v44, v44, v83
	v_fmac_f32_e32 v41, 0x3ee1c552, v39
	v_fmac_f32_e32 v52, 0x3ee1c552, v39
	v_fma_f32 v45, v45, v6, -v121
	v_add_f32_e32 v57, v27, v83
	v_add_f32_e32 v58, v28, v43
	;; [unrolled: 1-line block ×4, first 2 shown]
	v_fmac_f32_e32 v48, 0x3ee1c552, v47
	v_fmac_f32_e32 v56, 0x3ee1c552, v39
	;; [unrolled: 1-line block ×4, first 2 shown]
	v_add_f32_e32 v35, v52, v44
	v_sub_f32_e32 v37, v89, v41
	v_add_f32_e32 v39, v41, v89
	v_sub_f32_e32 v41, v44, v52
	v_add_f32_e32 v47, v49, v55
	v_add_f32_e32 v52, v53, v46
	;; [unrolled: 1-line block ×3, first 2 shown]
	v_sub_f32_e32 v28, v58, v48
	v_sub_f32_e32 v36, v43, v51
	v_add_f32_e32 v38, v42, v93
	v_sub_f32_e32 v40, v93, v42
	v_add_f32_e32 v42, v51, v43
	v_sub_f32_e32 v43, v57, v56
	v_add_f32_e32 v44, v48, v58
	v_add_f32_e32 v48, v116, v126
	v_sub_f32_e32 v49, v49, v55
	v_add_f32_e32 v55, v118, v124
	v_add_f32_e32 v56, v54, v45
	;; [unrolled: 1-line block ×5, first 2 shown]
	v_sub_f32_e32 v89, v52, v47
	v_sub_f32_e32 v47, v47, v56
	;; [unrolled: 1-line block ×3, first 2 shown]
	v_add_f32_e32 v56, v56, v58
	v_fmac_f32_e32 v100, v105, v4
	v_mul_f32_e32 v105, v108, v1
	v_sub_f32_e32 v46, v53, v46
	v_sub_f32_e32 v45, v45, v54
	;; [unrolled: 1-line block ×5, first 2 shown]
	v_add_f32_e32 v57, v57, v83
	v_add_f32_e32 v29, v29, v56
	v_fmac_f32_e32 v105, v109, v0
	v_add_f32_e32 v98, v45, v46
	v_sub_f32_e32 v109, v45, v46
	v_sub_f32_e32 v46, v46, v49
	v_add_f32_e32 v30, v30, v57
	v_mov_b32_e32 v111, v29
	v_sub_f32_e32 v51, v116, v126
	v_sub_f32_e32 v53, v118, v124
	;; [unrolled: 1-line block ×4, first 2 shown]
	v_add_f32_e32 v49, v98, v49
	v_mul_f32_e32 v47, 0x3f4a47b2, v47
	v_mul_f32_e32 v48, 0x3f4a47b2, v48
	;; [unrolled: 1-line block ×6, first 2 shown]
	v_fmac_f32_e32 v111, 0xbf955555, v56
	v_mov_b32_e32 v56, v30
	v_add_f32_e32 v108, v54, v53
	v_sub_f32_e32 v110, v54, v53
	v_sub_f32_e32 v53, v53, v51
	v_fmac_f32_e32 v56, 0xbf955555, v57
	v_fma_f32 v57, v89, s12, -v58
	v_fma_f32 v58, v93, s12, -v83
	;; [unrolled: 1-line block ×3, first 2 shown]
	v_fmac_f32_e32 v47, 0x3d64c772, v52
	v_fma_f32 v52, v93, s3, -v48
	v_fmac_f32_e32 v48, 0x3d64c772, v55
	v_fma_f32 v55, v46, s2, -v98
	;; [unrolled: 2-line block ×3, first 2 shown]
	v_sub_f32_e32 v54, v51, v54
	v_add_f32_e32 v51, v108, v51
	v_mul_f32_e32 v108, 0xbf08b237, v110
	v_mul_f32_e32 v110, 0x3f5ff5aa, v53
	v_fmac_f32_e32 v98, 0x3ee1c552, v49
	v_fmac_f32_e32 v55, 0x3ee1c552, v49
	;; [unrolled: 1-line block ×3, first 2 shown]
	v_add_f32_e32 v49, v59, v69
	v_sub_f32_e32 v59, v59, v69
	v_add_f32_e32 v69, v61, v67
	v_fma_f32 v53, v53, s2, -v108
	v_fmac_f32_e32 v108, 0x3eae86e6, v54
	v_fma_f32 v93, v54, s13, -v110
	v_add_f32_e32 v54, v57, v111
	v_add_f32_e32 v57, v58, v56
	;; [unrolled: 1-line block ×4, first 2 shown]
	v_sub_f32_e32 v60, v60, v70
	v_add_f32_e32 v70, v62, v68
	v_sub_f32_e32 v61, v61, v67
	v_add_f32_e32 v67, v63, v65
	;; [unrolled: 2-line block ×5, first 2 shown]
	v_add_f32_e32 v65, v67, v65
	v_add_f32_e32 v109, v47, v111
	;; [unrolled: 1-line block ×4, first 2 shown]
	v_fmac_f32_e32 v108, 0x3ee1c552, v51
	v_fmac_f32_e32 v53, 0x3ee1c552, v51
	;; [unrolled: 1-line block ×3, first 2 shown]
	v_add_f32_e32 v66, v68, v66
	v_add_f32_e32 v31, v31, v65
	;; [unrolled: 1-line block ×3, first 2 shown]
	v_sub_f32_e32 v46, v110, v98
	v_add_f32_e32 v47, v93, v58
	v_sub_f32_e32 v48, v56, v89
	v_sub_f32_e32 v51, v54, v53
	v_add_f32_e32 v52, v55, v57
	v_add_f32_e32 v53, v53, v54
	v_sub_f32_e32 v54, v57, v55
	v_sub_f32_e32 v55, v58, v93
	v_add_f32_e32 v56, v89, v56
	v_sub_f32_e32 v57, v109, v108
	v_add_f32_e32 v58, v98, v110
	v_sub_f32_e32 v89, v69, v49
	v_sub_f32_e32 v93, v70, v83
	;; [unrolled: 1-line block ×6, first 2 shown]
	v_add_f32_e32 v98, v63, v61
	v_add_f32_e32 v108, v64, v62
	v_sub_f32_e32 v109, v63, v61
	v_sub_f32_e32 v110, v64, v62
	;; [unrolled: 1-line block ×4, first 2 shown]
	v_add_f32_e32 v32, v32, v66
	v_mov_b32_e32 v111, v31
	v_sub_f32_e32 v63, v59, v63
	v_sub_f32_e32 v64, v60, v64
	v_add_f32_e32 v59, v98, v59
	v_add_f32_e32 v60, v108, v60
	v_mul_f32_e32 v49, 0x3f4a47b2, v49
	v_mul_f32_e32 v67, 0x3f4a47b2, v83
	;; [unrolled: 1-line block ×8, first 2 shown]
	v_fmac_f32_e32 v111, 0xbf955555, v65
	v_mov_b32_e32 v65, v32
	v_fmac_f32_e32 v65, 0xbf955555, v66
	v_fma_f32 v66, v89, s12, -v68
	v_fma_f32 v68, v93, s12, -v83
	;; [unrolled: 1-line block ×3, first 2 shown]
	v_fmac_f32_e32 v49, 0x3d64c772, v69
	v_fma_f32 v69, v93, s3, -v67
	v_fmac_f32_e32 v67, 0x3d64c772, v70
	v_fma_f32 v70, v61, s2, -v98
	v_fma_f32 v89, v62, s2, -v108
	v_fmac_f32_e32 v108, 0x3eae86e6, v64
	v_fma_f32 v93, v63, s13, -v109
	v_fma_f32 v109, v64, s13, -v110
	v_fmac_f32_e32 v98, 0x3eae86e6, v63
	v_add_f32_e32 v49, v49, v111
	v_add_f32_e32 v110, v67, v65
	;; [unrolled: 1-line block ×6, first 2 shown]
	v_fmac_f32_e32 v108, 0x3ee1c552, v60
	v_fmac_f32_e32 v70, 0x3ee1c552, v59
	;; [unrolled: 1-line block ×6, first 2 shown]
	v_add_f32_e32 v59, v108, v49
	v_add_f32_e32 v61, v109, v68
	v_sub_f32_e32 v62, v69, v93
	v_sub_f32_e32 v63, v66, v89
	v_add_f32_e32 v64, v70, v67
	v_add_f32_e32 v65, v89, v66
	v_sub_f32_e32 v66, v67, v70
	v_sub_f32_e32 v67, v68, v109
	v_add_f32_e32 v68, v93, v69
	v_sub_f32_e32 v69, v49, v108
	v_add_f32_e32 v49, v71, v88
	v_add_f32_e32 v83, v72, v81
	v_sub_f32_e32 v72, v72, v81
	v_add_f32_e32 v81, v75, v78
	v_sub_f32_e32 v71, v71, v88
	;; [unrolled: 2-line block ×3, first 2 shown]
	v_sub_f32_e32 v73, v73, v80
	v_add_f32_e32 v78, v74, v79
	v_add_f32_e32 v80, v76, v77
	v_sub_f32_e32 v76, v77, v76
	v_add_f32_e32 v77, v81, v49
	v_sub_f32_e32 v74, v79, v74
	v_add_f32_e32 v79, v88, v83
	v_add_f32_e32 v77, v78, v77
	v_sub_f32_e32 v89, v81, v49
	v_sub_f32_e32 v49, v49, v78
	;; [unrolled: 1-line block ×3, first 2 shown]
	v_add_f32_e32 v78, v80, v79
	v_add_f32_e32 v33, v33, v77
	v_sub_f32_e32 v60, v110, v98
	v_add_f32_e32 v70, v98, v110
	v_sub_f32_e32 v93, v88, v83
	v_sub_f32_e32 v83, v83, v80
	v_sub_f32_e32 v88, v80, v88
	v_add_f32_e32 v98, v74, v75
	v_add_f32_e32 v108, v76, v73
	v_sub_f32_e32 v109, v74, v75
	v_sub_f32_e32 v110, v76, v73
	;; [unrolled: 1-line block ×4, first 2 shown]
	v_add_f32_e32 v34, v34, v78
	v_mov_b32_e32 v111, v33
	v_sub_f32_e32 v74, v71, v74
	v_sub_f32_e32 v76, v72, v76
	v_add_f32_e32 v71, v98, v71
	v_add_f32_e32 v72, v108, v72
	v_mul_f32_e32 v49, 0x3f4a47b2, v49
	v_mul_f32_e32 v79, 0x3f4a47b2, v83
	;; [unrolled: 1-line block ×8, first 2 shown]
	v_fmac_f32_e32 v111, 0xbf955555, v77
	v_mov_b32_e32 v77, v34
	v_fmac_f32_e32 v77, 0xbf955555, v78
	v_fma_f32 v78, v89, s12, -v80
	v_fma_f32 v80, v93, s12, -v83
	;; [unrolled: 1-line block ×3, first 2 shown]
	v_fmac_f32_e32 v49, 0x3d64c772, v81
	v_fma_f32 v81, v93, s3, -v79
	v_fmac_f32_e32 v79, 0x3d64c772, v88
	v_fma_f32 v88, v75, s2, -v98
	v_fma_f32 v89, v73, s2, -v108
	v_fmac_f32_e32 v108, 0x3eae86e6, v76
	v_fma_f32 v93, v74, s13, -v109
	v_fma_f32 v109, v76, s13, -v110
	v_fmac_f32_e32 v98, 0x3eae86e6, v74
	v_add_f32_e32 v49, v49, v111
	v_add_f32_e32 v110, v79, v77
	;; [unrolled: 1-line block ×6, first 2 shown]
	v_fmac_f32_e32 v108, 0x3ee1c552, v72
	v_fmac_f32_e32 v88, 0x3ee1c552, v71
	;; [unrolled: 1-line block ×6, first 2 shown]
	v_add_f32_e32 v71, v108, v49
	v_add_f32_e32 v73, v109, v80
	v_sub_f32_e32 v74, v81, v93
	v_sub_f32_e32 v75, v78, v89
	v_add_f32_e32 v76, v88, v79
	v_add_f32_e32 v77, v89, v78
	v_sub_f32_e32 v78, v79, v88
	v_sub_f32_e32 v79, v80, v109
	v_add_f32_e32 v80, v93, v81
	v_sub_f32_e32 v88, v49, v108
	v_add_f32_e32 v49, v82, v106
	v_add_f32_e32 v81, v90, v107
	v_sub_f32_e32 v83, v90, v107
	v_add_f32_e32 v90, v91, v104
	v_sub_f32_e32 v72, v110, v98
	v_add_f32_e32 v89, v98, v110
	v_add_f32_e32 v93, v92, v105
	v_add_f32_e32 v98, v97, v102
	v_sub_f32_e32 v97, v102, v97
	v_add_f32_e32 v102, v90, v49
	v_sub_f32_e32 v91, v91, v104
	v_sub_f32_e32 v92, v92, v105
	v_add_f32_e32 v104, v100, v103
	v_sub_f32_e32 v100, v103, v100
	v_add_f32_e32 v103, v93, v81
	v_sub_f32_e32 v105, v90, v49
	v_sub_f32_e32 v49, v49, v98
	;; [unrolled: 1-line block ×3, first 2 shown]
	v_add_f32_e32 v98, v98, v102
	v_add_f32_e32 v102, v104, v103
	v_add_f32_e32 v14, v14, v98
	v_sub_f32_e32 v82, v82, v106
	v_sub_f32_e32 v106, v93, v81
	v_sub_f32_e32 v81, v81, v104
	v_sub_f32_e32 v93, v104, v93
	v_add_f32_e32 v108, v100, v92
	v_sub_f32_e32 v110, v100, v92
	v_add_f32_e32 v15, v15, v102
	v_mov_b32_e32 v111, v14
	v_add_f32_e32 v107, v97, v91
	v_sub_f32_e32 v109, v97, v91
	v_sub_f32_e32 v100, v83, v100
	;; [unrolled: 1-line block ×4, first 2 shown]
	v_add_f32_e32 v83, v108, v83
	v_mul_f32_e32 v49, 0x3f4a47b2, v49
	v_mul_f32_e32 v81, 0x3f4a47b2, v81
	;; [unrolled: 1-line block ×5, first 2 shown]
	v_fmac_f32_e32 v111, 0xbf955555, v98
	v_mov_b32_e32 v98, v15
	v_sub_f32_e32 v97, v82, v97
	v_add_f32_e32 v82, v107, v82
	v_mul_f32_e32 v107, 0xbf08b237, v109
	v_mul_f32_e32 v109, 0x3f5ff5aa, v91
	v_fmac_f32_e32 v98, 0xbf955555, v102
	v_fma_f32 v102, v105, s12, -v103
	v_fma_f32 v103, v106, s12, -v104
	;; [unrolled: 1-line block ×3, first 2 shown]
	v_fmac_f32_e32 v49, 0x3d64c772, v90
	v_fma_f32 v90, v106, s3, -v81
	v_fma_f32 v106, v92, s2, -v108
	v_fmac_f32_e32 v108, 0x3eae86e6, v100
	v_mul_f32_e32 v110, 0x3f5ff5aa, v92
	v_fma_f32 v105, v91, s2, -v107
	v_fmac_f32_e32 v107, 0x3eae86e6, v97
	v_fma_f32 v109, v97, s13, -v109
	v_add_f32_e32 v49, v49, v111
	v_fmac_f32_e32 v108, 0x3ee1c552, v83
	v_fma_f32 v100, v100, s13, -v110
	v_add_f32_e32 v110, v90, v98
	v_fmac_f32_e32 v107, 0x3ee1c552, v82
	v_fmac_f32_e32 v105, 0x3ee1c552, v82
	;; [unrolled: 1-line block ×3, first 2 shown]
	v_add_f32_e32 v90, v108, v49
	v_sub_f32_e32 v82, v49, v108
	v_lshrrev_b32_e32 v49, 2, v222
	v_mul_u32_u24_e32 v49, 28, v49
	v_or_b32_e32 v49, v49, v26
	v_lshlrev_b32_e32 v49, 3, v49
	ds_write2_b64 v49, v[16:17], v[27:28] offset1:4
	ds_write2_b64 v49, v[35:36], v[37:38] offset0:8 offset1:12
	ds_write2_b64 v49, v[39:40], v[41:42] offset0:16 offset1:20
	v_lshrrev_b32_e32 v16, 2, v87
	v_mul_u32_u24_e32 v16, 28, v16
	v_or_b32_e32 v16, v16, v26
	v_lshlrev_b32_e32 v16, 3, v16
	buffer_store_dword v49, off, s[20:23], 0 offset:292 ; 4-byte Folded Spill
	ds_write_b64 v49, v[43:44] offset:192
	ds_write2_b64 v16, v[29:30], v[45:46] offset1:4
	ds_write2_b64 v16, v[47:48], v[51:52] offset0:8 offset1:12
	ds_write2_b64 v16, v[53:54], v[55:56] offset0:16 offset1:20
	buffer_store_dword v16, off, s[20:23], 0 offset:296 ; 4-byte Folded Spill
	ds_write_b64 v16, v[57:58] offset:192
	v_lshrrev_b32_e32 v16, 2, v101
	v_mul_u32_u24_e32 v16, 28, v16
	v_or_b32_e32 v16, v16, v26
	v_lshlrev_b32_e32 v16, 3, v16
	ds_write2_b64 v16, v[31:32], v[59:60] offset1:4
	ds_write2_b64 v16, v[61:62], v[63:64] offset0:8 offset1:12
	ds_write2_b64 v16, v[65:66], v[67:68] offset0:16 offset1:20
	buffer_store_dword v16, off, s[20:23], 0 offset:300 ; 4-byte Folded Spill
	ds_write_b64 v16, v[69:70] offset:192
	v_lshrrev_b32_e32 v16, 2, v99
	v_mul_u32_u24_e32 v16, 28, v16
	v_or_b32_e32 v16, v16, v26
	v_lshlrev_b32_e32 v16, 3, v16
	ds_write2_b64 v16, v[33:34], v[71:72] offset1:4
	ds_write2_b64 v16, v[73:74], v[75:76] offset0:8 offset1:12
	ds_write2_b64 v16, v[77:78], v[79:80] offset0:16 offset1:20
	buffer_store_dword v16, off, s[20:23], 0 offset:304 ; 4-byte Folded Spill
	ds_write_b64 v16, v[88:89] offset:192
	v_lshrrev_b32_e32 v16, 2, v96
	v_fmac_f32_e32 v81, 0x3d64c772, v93
	v_mul_u32_u24_e32 v16, 28, v16
	v_add_f32_e32 v81, v81, v98
	v_or_b32_e32 v16, v16, v26
	v_add_f32_e32 v102, v102, v111
	v_add_f32_e32 v103, v103, v98
	;; [unrolled: 1-line block ×3, first 2 shown]
	v_fmac_f32_e32 v106, 0x3ee1c552, v83
	v_fmac_f32_e32 v100, 0x3ee1c552, v83
	v_sub_f32_e32 v91, v81, v107
	v_add_f32_e32 v83, v107, v81
	v_lshlrev_b32_e32 v16, 3, v16
	v_add_f32_e32 v92, v100, v104
	v_sub_f32_e32 v93, v110, v109
	v_sub_f32_e32 v97, v102, v106
	v_add_f32_e32 v98, v105, v103
	v_add_f32_e32 v102, v106, v102
	v_sub_f32_e32 v103, v103, v105
	v_sub_f32_e32 v104, v104, v100
	v_add_f32_e32 v105, v109, v110
	ds_write2_b64 v16, v[14:15], v[90:91] offset1:4
	ds_write2_b64 v16, v[92:93], v[97:98] offset0:8 offset1:12
	ds_write2_b64 v16, v[102:103], v[104:105] offset0:16 offset1:20
	buffer_store_dword v16, off, s[20:23], 0 offset:308 ; 4-byte Folded Spill
	ds_write_b64 v16, v[82:83] offset:192
	s_waitcnt lgkmcnt(0)
	; wave barrier
	s_waitcnt lgkmcnt(0)
	ds_read2_b64 v[42:45], v255 offset1:56
	ds_read2_b64 v[14:17], v18 offset0:128 offset1:212
	ds_read2_b64 v[78:81], v25 offset0:12 offset1:68
	;; [unrolled: 1-line block ×9, first 2 shown]
	v_add_u32_e32 v21, 0x2c00, v255
	ds_read2_b64 v[62:65], v21 offset0:76 offset1:132
	ds_read2_b64 v[26:29], v19 offset0:48 offset1:104
	;; [unrolled: 1-line block ×7, first 2 shown]
	v_lshlrev_b32_e32 v98, 2, v101
	v_lshlrev_b32_e32 v97, 2, v99
	;; [unrolled: 1-line block ×3, first 2 shown]
	v_cmp_gt_u16_e64 s[2:3], 28, v222
	s_and_saveexec_b64 s[12:13], s[2:3]
	s_cbranch_execz .LBB0_9
; %bb.8:
	ds_read_b64 v[82:83], v255 offset:7616
	ds_read_b64 v[12:13], v255 offset:15456
.LBB0_9:
	s_or_b64 exec, exec, s[12:13]
	v_add_co_u32_e32 v88, vcc, 0xffffffe4, v222
	v_addc_co_u32_e64 v89, s[12:13], 0, -1, vcc
	v_cndmask_b32_e64 v89, v89, 0, s[2:3]
	v_cndmask_b32_e64 v88, v88, v222, s[2:3]
	v_lshlrev_b64 v[89:90], 3, v[88:89]
	v_mov_b32_e32 v91, s5
	v_add_co_u32_e32 v89, vcc, s4, v89
	v_addc_co_u32_e32 v90, vcc, v91, v90, vcc
	v_lshrrev_b16_e32 v91, 2, v87
	v_lshrrev_b16_e32 v102, 2, v101
	v_lshrrev_b16_e32 v105, 2, v99
	v_and_b32_e32 v91, 63, v91
	v_and_b32_e32 v102, 63, v102
	;; [unrolled: 1-line block ×3, first 2 shown]
	v_mul_lo_u16_e32 v91, 37, v91
	v_mov_b32_e32 v92, 28
	v_mul_lo_u16_e32 v102, 37, v102
	v_mul_lo_u16_e32 v105, 37, v105
	v_mul_lo_u16_sdwa v93, v91, v92 dst_sel:DWORD dst_unused:UNUSED_PAD src0_sel:BYTE_1 src1_sel:DWORD
	v_mul_lo_u16_sdwa v103, v102, v92 dst_sel:DWORD dst_unused:UNUSED_PAD src0_sel:BYTE_1 src1_sel:DWORD
	;; [unrolled: 1-line block ×3, first 2 shown]
	v_sub_u16_e32 v87, v87, v93
	v_sub_u16_e32 v103, v101, v103
	;; [unrolled: 1-line block ×3, first 2 shown]
	v_and_b32_e32 v87, 0xff, v87
	v_and_b32_e32 v103, 0xff, v103
	;; [unrolled: 1-line block ×3, first 2 shown]
	v_lshlrev_b32_e32 v93, 3, v87
	v_lshlrev_b32_e32 v104, 3, v103
	;; [unrolled: 1-line block ×3, first 2 shown]
	global_load_dwordx2 v[188:189], v[89:90], off offset:192
	global_load_dwordx2 v[186:187], v93, s[4:5] offset:192
	global_load_dwordx2 v[182:183], v104, s[4:5] offset:192
	;; [unrolled: 1-line block ×3, first 2 shown]
	v_lshrrev_b16_e32 v89, 2, v96
	v_lshrrev_b16_e32 v109, 2, v84
	v_mul_u32_u24_e32 v89, 0x4925, v89
	v_lshrrev_b16_e32 v104, 2, v86
	v_lshrrev_b16_e32 v107, 2, v85
	v_mul_u32_u24_e32 v109, 0x4925, v109
	v_lshrrev_b32_e32 v89, 17, v89
	v_mul_u32_u24_e32 v104, 0x4925, v104
	v_mul_u32_u24_e32 v107, 0x4925, v107
	v_lshrrev_b32_e32 v109, 17, v109
	v_mul_lo_u16_e32 v90, 28, v89
	v_lshrrev_b32_e32 v104, 17, v104
	v_lshrrev_b32_e32 v107, 17, v107
	v_mul_lo_u16_e32 v110, 28, v109
	v_sub_u16_e32 v90, v96, v90
	v_mul_lo_u16_e32 v106, 28, v104
	v_mul_lo_u16_e32 v108, 28, v107
	v_sub_u16_e32 v84, v84, v110
	v_lshlrev_b32_e32 v93, 3, v90
	v_sub_u16_e32 v86, v86, v106
	v_sub_u16_e32 v85, v85, v108
	v_lshlrev_b32_e32 v110, 3, v84
	v_lshlrev_b32_e32 v106, 3, v86
	;; [unrolled: 1-line block ×3, first 2 shown]
	global_load_dwordx2 v[196:197], v93, s[4:5] offset:192
	global_load_dwordx2 v[194:195], v106, s[4:5] offset:192
	global_load_dwordx2 v[192:193], v108, s[4:5] offset:192
	global_load_dwordx2 v[190:191], v110, s[4:5] offset:192
	v_lshrrev_b16_e32 v93, 2, v127
	v_add_u16_e32 v110, 0x1f8, v222
	v_add_u16_e32 v113, 0x230, v222
	;; [unrolled: 1-line block ×3, first 2 shown]
	v_mul_u32_u24_e32 v93, 0x4925, v93
	v_lshrrev_b16_e32 v111, 2, v110
	v_lshrrev_b16_e32 v114, 2, v113
	;; [unrolled: 1-line block ×3, first 2 shown]
	v_lshrrev_b32_e32 v93, 17, v93
	v_mul_u32_u24_e32 v111, 0x4925, v111
	v_mul_u32_u24_e32 v114, 0x4925, v114
	;; [unrolled: 1-line block ×3, first 2 shown]
	v_mul_lo_u16_e32 v106, 28, v93
	v_mov_b32_e32 v108, v127
	v_lshrrev_b32_e32 v111, 17, v111
	v_lshrrev_b32_e32 v114, 17, v114
	;; [unrolled: 1-line block ×3, first 2 shown]
	buffer_store_dword v108, off, s[20:23], 0 ; 4-byte Folded Spill
	s_nop 0
	buffer_store_dword v109, off, s[20:23], 0 offset:4 ; 4-byte Folded Spill
	v_sub_u16_e32 v106, v127, v106
	v_mul_lo_u16_e32 v112, 28, v111
	v_mul_lo_u16_e32 v115, 28, v114
	;; [unrolled: 1-line block ×3, first 2 shown]
	v_lshlrev_b32_e32 v108, 3, v106
	v_sub_u16_e32 v110, v110, v112
	v_sub_u16_e32 v113, v113, v115
	v_sub_u16_e32 v116, v116, v118
	v_lshlrev_b32_e32 v112, 3, v110
	v_lshlrev_b32_e32 v115, 3, v113
	;; [unrolled: 1-line block ×3, first 2 shown]
	global_load_dwordx2 v[204:205], v108, s[4:5] offset:192
	global_load_dwordx2 v[202:203], v112, s[4:5] offset:192
	;; [unrolled: 1-line block ×4, first 2 shown]
	v_add_u16_e32 v108, 0x2a0, v222
	v_lshrrev_b16_e32 v112, 2, v108
	v_add_u16_e32 v118, 0x2d8, v222
	v_add_u16_e32 v124, 0x348, v222
	v_mul_u32_u24_e32 v112, 0x4925, v112
	v_lshrrev_b16_e32 v119, 2, v118
	v_add_u16_e32 v121, 0x310, v222
	v_lshrrev_b16_e32 v125, 2, v124
	v_lshrrev_b32_e32 v112, 17, v112
	v_mul_u32_u24_e32 v119, 0x4925, v119
	v_lshrrev_b16_e32 v122, 2, v121
	v_mul_u32_u24_e32 v125, 0x4925, v125
	v_mul_lo_u16_e32 v115, 28, v112
	v_lshrrev_b32_e32 v119, 17, v119
	v_mul_u32_u24_e32 v122, 0x4925, v122
	v_lshrrev_b32_e32 v125, 17, v125
	v_sub_u16_e32 v108, v108, v115
	v_mul_lo_u16_e32 v120, 28, v119
	v_lshrrev_b32_e32 v122, 17, v122
	v_mul_lo_u16_e32 v126, 28, v125
	v_lshlrev_b32_e32 v115, 3, v108
	v_sub_u16_e32 v118, v118, v120
	v_mul_lo_u16_e32 v123, 28, v122
	v_sub_u16_e32 v124, v124, v126
	v_lshlrev_b32_e32 v120, 3, v118
	v_sub_u16_e32 v121, v121, v123
	global_load_dwordx2 v[212:213], v115, s[4:5] offset:192
	v_lshlrev_b32_e32 v115, 3, v124
	v_lshlrev_b32_e32 v123, 3, v121
	global_load_dwordx2 v[210:211], v120, s[4:5] offset:192
	global_load_dwordx2 v[208:209], v123, s[4:5] offset:192
	;; [unrolled: 1-line block ×3, first 2 shown]
	v_or_b32_e32 v115, 0x380, v222
	v_lshrrev_b16_e32 v120, 2, v115
	v_mul_u32_u24_e32 v120, 0x4925, v120
	v_lshrrev_b32_e32 v120, 17, v120
	v_add_u16_e32 v126, 0x3b8, v222
	v_mul_lo_u16_e32 v123, 28, v120
	v_lshrrev_b16_e32 v127, 2, v126
	v_sub_u16_e32 v115, v115, v123
	v_mul_u32_u24_e32 v127, 0x4925, v127
	v_lshlrev_b32_e32 v123, 3, v115
	v_lshrrev_b32_e32 v127, 17, v127
	global_load_dwordx2 v[214:215], v123, s[4:5] offset:192
	v_mul_lo_u16_e32 v123, 28, v127
	v_sub_u16_e32 v123, v126, v123
	v_lshlrev_b32_e32 v123, 3, v123
	global_load_dwordx2 v[251:252], v123, s[4:5] offset:192
	v_cmp_lt_u16_e32 vcc, 27, v222
	buffer_store_dword v123, off, s[20:23], 0 offset:312 ; 4-byte Folded Spill
	s_waitcnt vmcnt(20) lgkmcnt(14)
	v_mul_f32_e32 v123, v17, v189
	v_fma_f32 v123, v16, v188, -v123
	v_mul_f32_e32 v16, v16, v189
	v_fmac_f32_e32 v16, v17, v188
	s_waitcnt vmcnt(19)
	v_mul_f32_e32 v17, v79, v187
	v_fma_f32 v126, v78, v186, -v17
	v_mul_f32_e32 v78, v78, v187
	s_waitcnt vmcnt(18)
	v_mul_f32_e32 v17, v81, v183
	v_fmac_f32_e32 v78, v79, v186
	v_fma_f32 v79, v80, v182, -v17
	v_mul_f32_e32 v80, v80, v183
	s_waitcnt vmcnt(17) lgkmcnt(12)
	v_mul_f32_e32 v17, v75, v254
	v_fmac_f32_e32 v80, v81, v182
	v_fma_f32 v81, v74, v253, -v17
	v_mul_f32_e32 v74, v74, v254
	s_waitcnt vmcnt(16)
	v_mul_f32_e32 v17, v77, v197
	v_fmac_f32_e32 v74, v75, v253
	v_fma_f32 v75, v76, v196, -v17
	v_mul_f32_e32 v76, v76, v197
	s_waitcnt vmcnt(15) lgkmcnt(10)
	v_mul_f32_e32 v17, v71, v195
	v_fmac_f32_e32 v76, v77, v196
	v_fma_f32 v77, v70, v194, -v17
	v_mul_f32_e32 v70, v70, v195
	s_waitcnt vmcnt(14)
	v_mul_f32_e32 v17, v73, v193
	v_fmac_f32_e32 v70, v71, v194
	v_fma_f32 v71, v72, v192, -v17
	v_mul_f32_e32 v72, v72, v193
	s_waitcnt vmcnt(13) lgkmcnt(8)
	v_mul_f32_e32 v17, v67, v191
	v_fmac_f32_e32 v72, v73, v192
	v_fma_f32 v73, v66, v190, -v17
	v_mul_f32_e32 v66, v66, v191
	s_waitcnt vmcnt(10)
	v_mul_f32_e32 v17, v69, v205
	v_fmac_f32_e32 v66, v67, v190
	v_fma_f32 v67, v68, v204, -v17
	v_mul_f32_e32 v68, v68, v205
	s_waitcnt vmcnt(9) lgkmcnt(6)
	v_mul_f32_e32 v17, v63, v203
	v_fmac_f32_e32 v68, v69, v204
	v_fma_f32 v69, v62, v202, -v17
	s_waitcnt vmcnt(8)
	v_mul_f32_e32 v17, v65, v201
	v_fma_f32 v128, v64, v200, -v17
	s_waitcnt vmcnt(7) lgkmcnt(4)
	v_mul_f32_e32 v17, v59, v199
	v_fma_f32 v130, v58, v198, -v17
	s_waitcnt lgkmcnt(0)
	; wave barrier
	s_waitcnt lgkmcnt(0)
	v_mul_f32_e32 v131, v58, v199
	v_fmac_f32_e32 v131, v59, v198
	v_sub_f32_e32 v58, v40, v77
	v_sub_f32_e32 v59, v41, v70
	v_fma_f32 v40, v40, 2.0, -v58
	v_fma_f32 v41, v41, 2.0, -v59
	v_mul_f32_e32 v127, v62, v203
	v_fmac_f32_e32 v127, v63, v202
	v_sub_f32_e32 v62, v36, v73
	v_sub_f32_e32 v63, v37, v66
	v_mul_f32_e32 v129, v64, v201
	v_fma_f32 v36, v36, 2.0, -v62
	v_fma_f32 v37, v37, 2.0, -v63
	v_fmac_f32_e32 v129, v65, v200
	s_waitcnt vmcnt(6)
	v_mul_f32_e32 v17, v61, v213
	v_fma_f32 v132, v60, v212, -v17
	s_waitcnt vmcnt(5)
	v_mul_f32_e32 v17, v55, v211
	v_fma_f32 v134, v54, v210, -v17
	;; [unrolled: 3-line block ×4, first 2 shown]
	v_mul_f32_e32 v135, v54, v211
	v_mul_f32_e32 v139, v50, v207
	v_fmac_f32_e32 v139, v51, v206
	v_sub_f32_e32 v50, v46, v79
	v_sub_f32_e32 v51, v47, v80
	v_fma_f32 v46, v46, 2.0, -v50
	v_fma_f32 v47, v47, 2.0, -v51
	s_waitcnt vmcnt(2)
	v_mul_f32_e32 v17, v53, v215
	v_fma_f32 v140, v52, v214, -v17
	v_mul_f32_e32 v141, v52, v215
	v_sub_f32_e32 v52, v48, v81
	s_waitcnt vmcnt(1)
	v_mul_f32_e32 v17, v13, v252
	v_mul_f32_e32 v143, v12, v252
	v_fma_f32 v142, v12, v251, -v17
	v_fmac_f32_e32 v143, v13, v251
	v_sub_f32_e32 v12, v42, v123
	v_sub_f32_e32 v13, v43, v16
	v_fma_f32 v54, v48, 2.0, -v52
	v_cndmask_b32_e64 v48, 0, 56, vcc
	v_fma_f32 v16, v42, 2.0, -v12
	v_fma_f32 v17, v43, 2.0, -v13
	v_add_lshl_u32 v48, v88, v48, 3
	buffer_store_dword v48, off, s[20:23], 0 offset:316 ; 4-byte Folded Spill
	ds_write2_b64 v48, v[16:17], v[12:13] offset1:28
	v_mov_b32_e32 v48, 56
	v_sub_f32_e32 v42, v44, v126
	v_sub_f32_e32 v43, v45, v78
	v_mul_u32_u24_sdwa v12, v91, v48 dst_sel:DWORD dst_unused:UNUSED_PAD src0_sel:BYTE_1 src1_sel:DWORD
	v_fma_f32 v44, v44, 2.0, -v42
	v_fma_f32 v45, v45, 2.0, -v43
	v_add_lshl_u32 v12, v12, v87, 3
	buffer_store_dword v12, off, s[20:23], 0 offset:320 ; 4-byte Folded Spill
	ds_write2_b64 v12, v[44:45], v[42:43] offset1:28
	v_mul_u32_u24_sdwa v12, v102, v48 dst_sel:DWORD dst_unused:UNUSED_PAD src0_sel:BYTE_1 src1_sel:DWORD
	v_add_lshl_u32 v12, v12, v103, 3
	v_fmac_f32_e32 v141, v53, v214
	v_sub_f32_e32 v53, v49, v74
	buffer_store_dword v12, off, s[20:23], 0 offset:324 ; 4-byte Folded Spill
	ds_write2_b64 v12, v[46:47], v[50:51] offset1:28
	v_mul_u32_u24_sdwa v12, v105, v48 dst_sel:DWORD dst_unused:UNUSED_PAD src0_sel:BYTE_1 src1_sel:DWORD
	v_fmac_f32_e32 v135, v55, v210
	v_mul_f32_e32 v137, v56, v209
	v_fma_f32 v55, v49, 2.0, -v53
	v_add_lshl_u32 v12, v12, v92, 3
	v_fmac_f32_e32 v137, v57, v208
	v_sub_f32_e32 v56, v38, v75
	v_sub_f32_e32 v57, v39, v76
	buffer_store_dword v12, off, s[20:23], 0 offset:328 ; 4-byte Folded Spill
	ds_write2_b64 v12, v[54:55], v[52:53] offset1:28
	v_mad_legacy_u16 v12, v89, 56, v90
	v_fma_f32 v38, v38, 2.0, -v56
	v_fma_f32 v39, v39, 2.0, -v57
	v_lshlrev_b32_e32 v12, 3, v12
	buffer_store_dword v12, off, s[20:23], 0 offset:332 ; 4-byte Folded Spill
	ds_write2_b64 v12, v[38:39], v[56:57] offset1:28
	v_mad_legacy_u16 v12, v104, 56, v86
	v_mul_f32_e32 v133, v60, v213
	v_lshlrev_b32_e32 v12, 3, v12
	v_fmac_f32_e32 v133, v61, v212
	v_sub_f32_e32 v60, v34, v71
	v_sub_f32_e32 v61, v35, v72
	buffer_store_dword v12, off, s[20:23], 0 offset:336 ; 4-byte Folded Spill
	ds_write2_b64 v12, v[40:41], v[58:59] offset1:28
	v_mad_legacy_u16 v12, v107, 56, v85
	v_fma_f32 v34, v34, 2.0, -v60
	v_fma_f32 v35, v35, 2.0, -v61
	v_lshlrev_b32_e32 v12, 3, v12
	buffer_store_dword v12, off, s[20:23], 0 offset:340 ; 4-byte Folded Spill
	ds_write2_b64 v12, v[34:35], v[60:61] offset1:28
	v_mad_legacy_u16 v12, v109, 56, v84
	v_lshlrev_b32_e32 v12, 3, v12
	v_sub_f32_e32 v64, v30, v67
	v_sub_f32_e32 v65, v31, v68
	buffer_store_dword v12, off, s[20:23], 0 offset:344 ; 4-byte Folded Spill
	ds_write2_b64 v12, v[36:37], v[62:63] offset1:28
	v_mad_legacy_u16 v12, v93, 56, v106
	v_fma_f32 v30, v30, 2.0, -v64
	v_fma_f32 v31, v31, 2.0, -v65
	v_lshlrev_b32_e32 v12, 3, v12
	v_sub_f32_e32 v66, v32, v69
	v_sub_f32_e32 v67, v33, v127
	buffer_store_dword v12, off, s[20:23], 0 offset:348 ; 4-byte Folded Spill
	ds_write2_b64 v12, v[30:31], v[64:65] offset1:28
	v_mad_legacy_u16 v12, v111, 56, v110
	v_fma_f32 v32, v32, 2.0, -v66
	v_fma_f32 v33, v33, 2.0, -v67
	;; [unrolled: 8-line block ×9, first 2 shown]
	v_sub_f32_e32 v216, v82, v142
	v_sub_f32_e32 v217, v83, v143
	v_lshlrev_b32_e32 v12, 3, v12
	buffer_store_dword v12, off, s[20:23], 0 offset:380 ; 4-byte Folded Spill
	ds_write2_b64 v12, v[14:15], v[80:81] offset1:28
	s_and_saveexec_b64 s[12:13], s[2:3]
	s_cbranch_execz .LBB0_11
; %bb.10:
	buffer_load_dword v14, off, s[20:23], 0 offset:312 ; 4-byte Folded Reload
	v_fma_f32 v13, v83, 2.0, -v217
	v_fma_f32 v12, v82, 2.0, -v216
	s_waitcnt vmcnt(0)
	v_add_u32_e32 v14, 0x3800, v14
	ds_write2_b64 v14, v[12:13], v[216:217] offset0:112 offset1:140
.LBB0_11:
	s_or_b64 exec, exec, s[12:13]
	v_lshlrev_b32_e32 v12, 3, v222
	v_add_co_u32_e32 v151, vcc, s14, v12
	v_mov_b32_e32 v12, s15
	v_mad_u64_u32 v[20:21], s[14:15], v222, 48, s[4:5]
	v_addc_co_u32_e32 v152, vcc, 0, v12, vcc
	v_add_u32_e32 v245, 0x400, v255
	v_add_u32_e32 v148, 0x1000, v255
	;; [unrolled: 1-line block ×8, first 2 shown]
	s_waitcnt lgkmcnt(0)
	; wave barrier
	s_waitcnt lgkmcnt(0)
	ds_read2_b64 v[68:71], v255 offset1:56
	ds_read2_b64 v[60:63], v245 offset0:96 offset1:152
	ds_read2_b64 v[24:27], v148 offset0:48 offset1:104
	;; [unrolled: 1-line block ×12, first 2 shown]
	v_mov_b32_e32 v155, v12
	v_add_u32_e32 v12, 0x3800, v255
	ds_read2_b64 v[136:139], v12 offset1:56
	v_mov_b32_e32 v157, v12
	v_add_u32_e32 v12, 0x1c00, v255
	ds_read2_b64 v[88:91], v225 offset0:192 offset1:248
	ds_read2_b64 v[84:87], v12 offset0:112 offset1:168
	v_mov_b32_e32 v156, v12
	ds_read2_b64 v[80:83], v226 offset0:32 offset1:88
	ds_read_b64 v[92:93], v255 offset:15232
	global_load_dwordx4 v[12:15], v[20:21], off offset:448
	global_load_dwordx4 v[16:19], v[20:21], off offset:432
	s_nop 0
	global_load_dwordx4 v[20:23], v[20:21], off offset:416
	s_mov_b32 s13, 0x3f5ff5aa
	s_mov_b32 s16, 0xbeae86e6
	v_lshlrev_b32_e32 v100, 3, v100
	s_movk_i32 s12, 0x3000
	s_waitcnt vmcnt(2) lgkmcnt(12)
	v_mul_f32_e32 v125, v74, v13
	s_waitcnt vmcnt(1)
	v_mul_f32_e32 v116, v78, v17
	s_waitcnt vmcnt(0)
	v_mul_f32_e32 v57, v63, v21
	v_fma_f32 v111, v62, v20, -v57
	v_mul_f32_e32 v57, v25, v23
	v_fma_f32 v113, v24, v22, -v57
	v_mul_f32_e32 v114, v24, v23
	v_mul_f32_e32 v24, v79, v17
	v_fma_f32 v115, v78, v16, -v24
	v_mul_f32_e32 v24, v29, v19
	v_fma_f32 v117, v28, v18, -v24
	;; [unrolled: 2-line block ×3, first 2 shown]
	s_waitcnt lgkmcnt(11)
	v_mul_f32_e32 v24, v33, v15
	v_fma_f32 v128, v32, v14, -v24
	s_waitcnt lgkmcnt(10)
	v_mul_f32_e32 v24, v37, v21
	v_fmac_f32_e32 v125, v75, v12
	v_fma_f32 v75, v36, v20, -v24
	v_mul_f32_e32 v24, v27, v23
	v_fmac_f32_e32 v116, v79, v16
	v_fma_f32 v79, v26, v22, -v24
	s_waitcnt lgkmcnt(9)
	v_mul_f32_e32 v24, v41, v17
	v_fma_f32 v103, v40, v16, -v24
	v_mul_f32_e32 v24, v31, v19
	v_fma_f32 v105, v30, v18, -v24
	s_waitcnt lgkmcnt(8)
	v_mul_f32_e32 v24, v45, v13
	v_fma_f32 v107, v44, v12, -v24
	v_mul_f32_e32 v24, v35, v15
	v_fma_f32 v109, v34, v14, -v24
	v_lshrrev_b16_e32 v24, 3, v101
	v_and_b32_e32 v24, 31, v24
	v_mul_lo_u16_e32 v24, 37, v24
	v_mul_lo_u16_sdwa v24, v24, v48 dst_sel:DWORD dst_unused:UNUSED_PAD src0_sel:BYTE_1 src1_sel:DWORD
	v_sub_u16_e32 v24, v101, v24
	v_mul_f32_e32 v112, v62, v21
	v_mul_f32_e32 v129, v32, v15
	v_and_b32_e32 v62, 0xff, v24
	v_fmac_f32_e32 v129, v33, v14
	v_mad_u64_u32 v[32:33], s[14:15], v62, 48, s[4:5]
	v_mul_f32_e32 v118, v28, v19
	v_mul_f32_e32 v102, v26, v23
	;; [unrolled: 1-line block ×4, first 2 shown]
	v_fmac_f32_e32 v114, v25, v22
	v_fmac_f32_e32 v118, v29, v18
	;; [unrolled: 1-line block ×5, first 2 shown]
	global_load_dwordx4 v[24:27], v[32:33], off offset:448
	global_load_dwordx4 v[28:31], v[32:33], off offset:432
	s_nop 0
	global_load_dwordx4 v[32:35], v[32:33], off offset:416
	v_mul_f32_e32 v78, v36, v21
	v_fmac_f32_e32 v112, v63, v20
	v_mul_f32_e32 v108, v44, v13
	v_fmac_f32_e32 v108, v45, v12
	v_mul_f32_e32 v104, v40, v17
	v_fmac_f32_e32 v78, v37, v20
	v_fmac_f32_e32 v104, v41, v16
	s_waitcnt vmcnt(2)
	v_mul_f32_e32 v131, v46, v25
	s_waitcnt vmcnt(1)
	v_mul_f32_e32 v123, v42, v29
	s_waitcnt vmcnt(0)
	v_mul_f32_e32 v36, v39, v33
	v_fma_f32 v101, v38, v32, -v36
	s_waitcnt lgkmcnt(6)
	v_mul_f32_e32 v36, v50, v35
	v_fma_f32 v120, v49, v34, -v36
	v_mul_f32_e32 v36, v43, v29
	v_fma_f32 v122, v42, v28, -v36
	s_waitcnt lgkmcnt(5)
	v_mul_f32_e32 v36, v54, v31
	v_fma_f32 v126, v53, v30, -v36
	v_mul_f32_e32 v36, v47, v25
	v_fma_f32 v130, v46, v24, -v36
	s_waitcnt lgkmcnt(4)
	v_mul_f32_e32 v36, v137, v27
	v_fma_f32 v135, v136, v26, -v36
	v_lshrrev_b16_e32 v36, 3, v99
	v_and_b32_e32 v36, 31, v36
	v_mul_lo_u16_e32 v36, 37, v36
	v_mul_lo_u16_sdwa v36, v36, v48 dst_sel:DWORD dst_unused:UNUSED_PAD src0_sel:BYTE_1 src1_sel:DWORD
	v_sub_u16_e32 v36, v99, v36
	v_and_b32_e32 v63, 0xff, v36
	v_mad_u64_u32 v[44:45], s[14:15], v63, 48, s[4:5]
	v_mul_f32_e32 v119, v38, v33
	v_fmac_f32_e32 v119, v39, v32
	v_fmac_f32_e32 v123, v43, v28
	v_fmac_f32_e32 v131, v47, v24
	global_load_dwordx4 v[36:39], v[44:45], off offset:448
	global_load_dwordx4 v[40:43], v[44:45], off offset:432
	s_nop 0
	global_load_dwordx4 v[44:47], v[44:45], off offset:416
	v_mul_f32_e32 v121, v49, v35
	v_mul_f32_e32 v136, v136, v27
	v_fmac_f32_e32 v136, v137, v26
	v_mul_f32_e32 v127, v53, v31
	v_fmac_f32_e32 v121, v50, v34
	v_fmac_f32_e32 v127, v54, v30
	s_mov_b32 s15, 0x3f3bfb3b
	s_mov_b32 s14, 0xbf3bfb3b
	v_lshlrev_b32_e32 v63, 3, v63
	s_waitcnt vmcnt(1)
	v_mul_f32_e32 v134, v55, v43
	s_waitcnt vmcnt(0) lgkmcnt(3)
	v_mul_f32_e32 v49, v89, v45
	v_fma_f32 v99, v88, v44, -v49
	v_mul_f32_e32 v88, v88, v45
	v_mul_f32_e32 v49, v52, v47
	v_fmac_f32_e32 v88, v89, v44
	v_fma_f32 v89, v51, v46, -v49
	s_waitcnt lgkmcnt(2)
	v_mul_f32_e32 v49, v85, v41
	v_fma_f32 v133, v84, v40, -v49
	v_mul_f32_e32 v84, v84, v41
	v_mul_f32_e32 v49, v56, v43
	v_fmac_f32_e32 v84, v85, v40
	v_fma_f32 v85, v55, v42, -v49
	s_waitcnt lgkmcnt(1)
	v_mul_f32_e32 v49, v81, v37
	v_fma_f32 v137, v80, v36, -v49
	v_mul_f32_e32 v80, v80, v37
	v_mul_f32_e32 v49, v139, v39
	v_fmac_f32_e32 v80, v81, v36
	v_fma_f32 v81, v138, v38, -v49
	v_lshrrev_b16_e32 v49, 3, v96
	v_mul_u32_u24_e32 v49, 0x2493, v49
	v_mul_lo_u16_sdwa v48, v49, v48 dst_sel:DWORD dst_unused:UNUSED_PAD src0_sel:WORD_1 src1_sel:DWORD
	v_sub_u16_e32 v74, v96, v48
	v_mul_lo_u16_e32 v48, 48, v74
	v_fmac_f32_e32 v134, v56, v42
	v_add_co_u32_e32 v56, vcc, s4, v48
	v_mov_b32_e32 v48, s5
	v_mul_f32_e32 v132, v51, v47
	v_addc_co_u32_e32 v57, vcc, 0, v48, vcc
	v_fmac_f32_e32 v132, v52, v46
	global_load_dwordx4 v[48:51], v[56:57], off offset:448
	global_load_dwordx4 v[52:55], v[56:57], off offset:432
	s_nop 0
	global_load_dwordx4 v[56:59], v[56:57], off offset:416
	v_mul_f32_e32 v138, v138, v39
	v_fmac_f32_e32 v138, v139, v38
	s_waitcnt lgkmcnt(0)
	; wave barrier
	s_waitcnt vmcnt(2) lgkmcnt(0)
	v_mul_f32_e32 v149, v82, v49
	s_waitcnt vmcnt(1)
	v_mul_f32_e32 v145, v72, v55
	s_waitcnt vmcnt(0)
	v_mul_f32_e32 v96, v91, v57
	v_fma_f32 v96, v90, v56, -v96
	v_mul_f32_e32 v139, v90, v57
	v_mul_f32_e32 v90, v77, v59
	v_fma_f32 v140, v76, v58, -v90
	v_mul_f32_e32 v141, v76, v59
	;; [unrolled: 3-line block ×3, first 2 shown]
	v_fma_f32 v144, v72, v54, -v76
	v_mul_f32_e32 v72, v83, v49
	v_fma_f32 v146, v82, v48, -v72
	v_mul_f32_e32 v72, v93, v51
	v_fma_f32 v150, v92, v50, -v72
	v_add_f32_e32 v72, v111, v128
	v_add_f32_e32 v82, v113, v124
	v_fmac_f32_e32 v145, v73, v54
	v_fmac_f32_e32 v149, v83, v48
	v_add_f32_e32 v73, v112, v129
	v_sub_f32_e32 v76, v111, v128
	v_add_f32_e32 v83, v114, v125
	v_add_f32_e32 v90, v115, v117
	;; [unrolled: 1-line block ×3, first 2 shown]
	v_fmac_f32_e32 v139, v91, v56
	v_fmac_f32_e32 v141, v77, v58
	v_mul_f32_e32 v143, v86, v53
	v_mul_f32_e32 v153, v92, v51
	v_sub_f32_e32 v77, v112, v129
	v_sub_f32_e32 v86, v113, v124
	v_add_f32_e32 v91, v116, v118
	v_add_f32_e32 v112, v83, v73
	v_sub_f32_e32 v113, v82, v72
	v_sub_f32_e32 v72, v72, v90
	;; [unrolled: 1-line block ×3, first 2 shown]
	v_add_f32_e32 v90, v90, v111
	v_fmac_f32_e32 v143, v87, v52
	v_fmac_f32_e32 v153, v93, v50
	v_sub_f32_e32 v87, v114, v125
	v_sub_f32_e32 v92, v117, v115
	;; [unrolled: 1-line block ×6, first 2 shown]
	v_add_f32_e32 v91, v91, v112
	v_add_f32_e32 v68, v68, v90
	;; [unrolled: 1-line block ×4, first 2 shown]
	v_sub_f32_e32 v117, v92, v86
	v_sub_f32_e32 v118, v93, v87
	;; [unrolled: 1-line block ×3, first 2 shown]
	v_add_f32_e32 v69, v69, v91
	v_mov_b32_e32 v124, v68
	v_sub_f32_e32 v92, v76, v92
	v_sub_f32_e32 v93, v77, v93
	;; [unrolled: 1-line block ×3, first 2 shown]
	v_add_f32_e32 v76, v115, v76
	v_add_f32_e32 v77, v116, v77
	v_mul_f32_e32 v72, 0x3f4a47b2, v72
	v_mul_f32_e32 v111, 0x3d64c772, v82
	;; [unrolled: 1-line block ×6, first 2 shown]
	v_fmac_f32_e32 v124, 0xbf955555, v90
	v_mov_b32_e32 v90, v69
	v_mul_f32_e32 v73, 0x3f4a47b2, v73
	v_mul_f32_e32 v117, 0x3f5ff5aa, v86
	v_fmac_f32_e32 v90, 0xbf955555, v91
	v_fma_f32 v91, v113, s15, -v111
	v_fma_f32 v111, v114, s15, -v112
	;; [unrolled: 1-line block ×5, first 2 shown]
	v_fmac_f32_e32 v116, 0x3eae86e6, v93
	v_fma_f32 v93, v93, s16, -v118
	v_fmac_f32_e32 v72, 0x3d64c772, v82
	v_fma_f32 v82, v114, s14, -v73
	v_fmac_f32_e32 v73, 0x3d64c772, v83
	v_fmac_f32_e32 v115, 0x3eae86e6, v92
	v_fma_f32 v92, v92, s16, -v117
	v_add_f32_e32 v87, v91, v124
	v_add_f32_e32 v91, v111, v90
	;; [unrolled: 1-line block ×3, first 2 shown]
	v_fmac_f32_e32 v93, 0x3ee1c552, v77
	v_add_f32_e32 v117, v73, v90
	v_add_f32_e32 v112, v82, v90
	v_fmac_f32_e32 v115, 0x3ee1c552, v76
	v_fmac_f32_e32 v113, 0x3ee1c552, v76
	;; [unrolled: 1-line block ×4, first 2 shown]
	v_add_f32_e32 v76, v93, v111
	v_sub_f32_e32 v90, v111, v93
	v_add_f32_e32 v111, v75, v109
	v_sub_f32_e32 v75, v75, v109
	v_add_f32_e32 v109, v79, v107
	v_fmac_f32_e32 v116, 0x3ee1c552, v77
	v_sub_f32_e32 v77, v112, v92
	v_sub_f32_e32 v82, v87, v86
	v_add_f32_e32 v83, v113, v91
	v_add_f32_e32 v86, v86, v87
	v_sub_f32_e32 v87, v91, v113
	v_add_f32_e32 v91, v92, v112
	v_add_f32_e32 v112, v78, v110
	v_sub_f32_e32 v78, v78, v110
	v_add_f32_e32 v110, v102, v108
	v_sub_f32_e32 v79, v79, v107
	;; [unrolled: 2-line block ×5, first 2 shown]
	v_add_f32_e32 v106, v110, v112
	v_add_f32_e32 v105, v107, v105
	;; [unrolled: 1-line block ×6, first 2 shown]
	v_sub_f32_e32 v73, v117, v115
	v_sub_f32_e32 v92, v114, v116
	v_add_f32_e32 v93, v115, v117
	v_sub_f32_e32 v113, v109, v111
	v_sub_f32_e32 v114, v110, v112
	;; [unrolled: 1-line block ×6, first 2 shown]
	v_add_f32_e32 v115, v103, v79
	v_sub_f32_e32 v117, v103, v79
	v_sub_f32_e32 v79, v79, v75
	v_add_f32_e32 v71, v71, v106
	v_mov_b32_e32 v124, v70
	v_add_f32_e32 v116, v104, v102
	v_sub_f32_e32 v118, v104, v102
	v_sub_f32_e32 v103, v75, v103
	v_add_f32_e32 v75, v115, v75
	v_mul_f32_e32 v107, 0x3f4a47b2, v111
	v_mul_f32_e32 v108, 0x3f4a47b2, v112
	;; [unrolled: 1-line block ×6, first 2 shown]
	v_fmac_f32_e32 v124, 0xbf955555, v105
	v_mov_b32_e32 v105, v71
	v_sub_f32_e32 v104, v78, v104
	v_sub_f32_e32 v102, v102, v78
	v_add_f32_e32 v78, v116, v78
	v_mul_f32_e32 v116, 0xbf08b237, v118
	v_fmac_f32_e32 v105, 0xbf955555, v106
	v_fma_f32 v106, v113, s15, -v111
	v_fma_f32 v111, v114, s15, -v112
	v_fma_f32 v112, v113, s14, -v107
	v_fmac_f32_e32 v107, 0x3d64c772, v109
	v_fma_f32 v109, v114, s14, -v108
	v_fma_f32 v114, v103, s16, -v117
	v_mul_f32_e32 v118, 0x3f5ff5aa, v102
	v_fmac_f32_e32 v108, 0x3d64c772, v110
	v_fma_f32 v110, v79, s13, -v115
	v_fmac_f32_e32 v115, 0x3eae86e6, v103
	v_fma_f32 v113, v102, s13, -v116
	v_fmac_f32_e32 v116, 0x3eae86e6, v104
	v_add_f32_e32 v109, v109, v105
	v_fmac_f32_e32 v114, 0x3ee1c552, v75
	v_fma_f32 v117, v104, s16, -v118
	v_add_f32_e32 v118, v107, v124
	v_add_f32_e32 v125, v108, v105
	;; [unrolled: 1-line block ×3, first 2 shown]
	v_fmac_f32_e32 v115, 0x3ee1c552, v75
	v_fmac_f32_e32 v116, 0x3ee1c552, v78
	;; [unrolled: 1-line block ×3, first 2 shown]
	v_sub_f32_e32 v103, v109, v114
	v_add_f32_e32 v109, v114, v109
	v_add_f32_e32 v75, v101, v135
	;; [unrolled: 1-line block ×5, first 2 shown]
	v_fmac_f32_e32 v113, 0x3ee1c552, v78
	v_fmac_f32_e32 v117, 0x3ee1c552, v78
	v_add_f32_e32 v78, v116, v118
	v_sub_f32_e32 v79, v125, v115
	v_add_f32_e32 v105, v110, v107
	v_sub_f32_e32 v107, v107, v110
	v_sub_f32_e32 v110, v118, v116
	v_add_f32_e32 v111, v115, v125
	v_add_f32_e32 v112, v119, v136
	;; [unrolled: 1-line block ×3, first 2 shown]
	v_sub_f32_e32 v116, v120, v130
	v_add_f32_e32 v118, v122, v126
	v_sub_f32_e32 v120, v126, v122
	v_add_f32_e32 v122, v114, v75
	v_add_f32_e32 v102, v117, v108
	v_sub_f32_e32 v104, v106, v113
	v_add_f32_e32 v106, v113, v106
	v_sub_f32_e32 v108, v108, v117
	v_sub_f32_e32 v113, v119, v136
	;; [unrolled: 1-line block ×3, first 2 shown]
	v_add_f32_e32 v119, v123, v127
	v_sub_f32_e32 v121, v127, v123
	v_add_f32_e32 v123, v115, v112
	v_sub_f32_e32 v124, v114, v75
	v_sub_f32_e32 v75, v75, v118
	;; [unrolled: 1-line block ×3, first 2 shown]
	v_add_f32_e32 v118, v118, v122
	v_sub_f32_e32 v101, v101, v135
	v_sub_f32_e32 v125, v115, v112
	;; [unrolled: 1-line block ×4, first 2 shown]
	v_add_f32_e32 v119, v119, v123
	v_add_f32_e32 v64, v64, v118
	;; [unrolled: 1-line block ×4, first 2 shown]
	v_sub_f32_e32 v128, v120, v116
	v_sub_f32_e32 v129, v121, v117
	;; [unrolled: 1-line block ×4, first 2 shown]
	v_add_f32_e32 v65, v65, v119
	v_mov_b32_e32 v130, v64
	v_sub_f32_e32 v120, v101, v120
	v_sub_f32_e32 v121, v113, v121
	v_add_f32_e32 v101, v126, v101
	v_add_f32_e32 v113, v127, v113
	v_mul_f32_e32 v75, 0x3f4a47b2, v75
	v_mul_f32_e32 v112, 0x3f4a47b2, v112
	;; [unrolled: 1-line block ×8, first 2 shown]
	v_fmac_f32_e32 v130, 0xbf955555, v118
	v_mov_b32_e32 v118, v65
	v_fmac_f32_e32 v118, 0xbf955555, v119
	v_fma_f32 v119, v124, s15, -v122
	v_fma_f32 v122, v125, s15, -v123
	;; [unrolled: 1-line block ×3, first 2 shown]
	v_fmac_f32_e32 v75, 0x3d64c772, v114
	v_fma_f32 v114, v125, s14, -v112
	v_fma_f32 v124, v116, s13, -v126
	v_fmac_f32_e32 v126, 0x3eae86e6, v120
	v_fma_f32 v125, v117, s13, -v127
	v_fmac_f32_e32 v127, 0x3eae86e6, v121
	v_fma_f32 v128, v120, s16, -v128
	v_fma_f32 v120, v121, s16, -v129
	v_fmac_f32_e32 v112, 0x3d64c772, v115
	v_add_f32_e32 v75, v75, v130
	v_add_f32_e32 v121, v122, v118
	;; [unrolled: 1-line block ×3, first 2 shown]
	v_fmac_f32_e32 v127, 0x3ee1c552, v113
	v_fmac_f32_e32 v120, 0x3ee1c552, v113
	v_add_f32_e32 v129, v112, v118
	v_add_f32_e32 v119, v119, v130
	;; [unrolled: 1-line block ×3, first 2 shown]
	v_fmac_f32_e32 v124, 0x3ee1c552, v101
	v_fmac_f32_e32 v125, 0x3ee1c552, v113
	v_add_f32_e32 v112, v127, v75
	v_add_f32_e32 v114, v120, v122
	v_sub_f32_e32 v120, v122, v120
	v_sub_f32_e32 v122, v75, v127
	v_add_f32_e32 v75, v99, v81
	v_sub_f32_e32 v81, v99, v81
	v_add_f32_e32 v99, v89, v137
	v_fmac_f32_e32 v126, 0x3ee1c552, v101
	v_fmac_f32_e32 v128, 0x3ee1c552, v101
	v_sub_f32_e32 v116, v119, v125
	v_add_f32_e32 v117, v124, v121
	v_add_f32_e32 v118, v125, v119
	v_sub_f32_e32 v119, v121, v124
	v_add_f32_e32 v101, v88, v138
	v_add_f32_e32 v124, v132, v80
	;; [unrolled: 1-line block ×4, first 2 shown]
	v_sub_f32_e32 v113, v129, v126
	v_sub_f32_e32 v115, v123, v128
	v_add_f32_e32 v121, v128, v123
	v_add_f32_e32 v123, v126, v129
	;; [unrolled: 1-line block ×4, first 2 shown]
	v_sub_f32_e32 v129, v99, v75
	v_sub_f32_e32 v75, v75, v125
	;; [unrolled: 1-line block ×3, first 2 shown]
	v_add_f32_e32 v125, v125, v127
	v_sub_f32_e32 v88, v88, v138
	v_sub_f32_e32 v89, v89, v137
	;; [unrolled: 1-line block ×8, first 2 shown]
	v_add_f32_e32 v126, v126, v128
	v_add_f32_e32 v66, v66, v125
	;; [unrolled: 1-line block ×4, first 2 shown]
	v_sub_f32_e32 v133, v85, v89
	v_sub_f32_e32 v134, v84, v80
	v_sub_f32_e32 v89, v89, v81
	v_sub_f32_e32 v80, v80, v88
	v_add_f32_e32 v67, v67, v126
	v_mov_b32_e32 v135, v66
	v_sub_f32_e32 v85, v81, v85
	v_sub_f32_e32 v84, v88, v84
	v_add_f32_e32 v81, v131, v81
	v_add_f32_e32 v88, v132, v88
	v_mul_f32_e32 v75, 0x3f4a47b2, v75
	v_mul_f32_e32 v101, 0x3f4a47b2, v101
	;; [unrolled: 1-line block ×8, first 2 shown]
	v_fmac_f32_e32 v135, 0xbf955555, v125
	v_mov_b32_e32 v125, v67
	v_fmac_f32_e32 v125, 0xbf955555, v126
	v_fma_f32 v126, v129, s15, -v127
	v_fma_f32 v127, v130, s15, -v128
	;; [unrolled: 1-line block ×3, first 2 shown]
	v_fmac_f32_e32 v75, 0x3d64c772, v99
	v_fma_f32 v99, v130, s14, -v101
	v_fmac_f32_e32 v101, 0x3d64c772, v124
	v_fma_f32 v129, v89, s13, -v131
	v_fma_f32 v124, v80, s13, -v132
	v_fmac_f32_e32 v132, 0x3eae86e6, v84
	v_fma_f32 v130, v85, s16, -v133
	v_fma_f32 v133, v84, s16, -v134
	v_fmac_f32_e32 v131, 0x3eae86e6, v85
	v_add_f32_e32 v75, v75, v135
	v_add_f32_e32 v126, v126, v135
	;; [unrolled: 1-line block ×5, first 2 shown]
	v_fmac_f32_e32 v132, 0x3ee1c552, v88
	v_fmac_f32_e32 v129, 0x3ee1c552, v81
	;; [unrolled: 1-line block ×5, first 2 shown]
	v_add_f32_e32 v101, v101, v125
	v_fmac_f32_e32 v131, 0x3ee1c552, v81
	v_add_f32_e32 v80, v132, v75
	v_add_f32_e32 v84, v133, v128
	v_sub_f32_e32 v85, v99, v130
	v_sub_f32_e32 v88, v126, v124
	v_add_f32_e32 v89, v129, v127
	v_add_f32_e32 v124, v124, v126
	v_sub_f32_e32 v125, v127, v129
	v_sub_f32_e32 v126, v128, v133
	v_add_f32_e32 v127, v130, v99
	v_sub_f32_e32 v128, v75, v132
	v_add_f32_e32 v75, v96, v150
	v_add_f32_e32 v130, v140, v146
	v_sub_f32_e32 v81, v101, v131
	v_add_f32_e32 v129, v131, v101
	v_add_f32_e32 v99, v139, v153
	;; [unrolled: 1-line block ×5, first 2 shown]
	v_sub_f32_e32 v101, v139, v153
	v_sub_f32_e32 v132, v140, v146
	v_add_f32_e32 v135, v143, v145
	v_add_f32_e32 v139, v131, v99
	v_sub_f32_e32 v140, v130, v75
	v_sub_f32_e32 v75, v75, v134
	;; [unrolled: 1-line block ×3, first 2 shown]
	v_add_f32_e32 v134, v134, v138
	ds_write2_b64 v255, v[68:69], v[72:73] offset1:56
	ds_write2_b64 v255, v[76:77], v[82:83] offset0:112 offset1:168
	ds_write2_b64 v245, v[86:87], v[90:91] offset0:96 offset1:152
	;; [unrolled: 1-line block ×6, first 2 shown]
	v_lshlrev_b32_e32 v68, 3, v62
	v_sub_f32_e32 v133, v141, v149
	v_sub_f32_e32 v136, v144, v142
	;; [unrolled: 1-line block ×6, first 2 shown]
	v_add_f32_e32 v135, v135, v139
	v_add_f32_e32 v60, v60, v134
	v_add_u32_e32 v62, 0x1800, v68
	v_sub_f32_e32 v96, v96, v150
	v_add_f32_e32 v142, v136, v132
	v_add_f32_e32 v143, v137, v133
	v_sub_f32_e32 v144, v136, v132
	v_sub_f32_e32 v145, v137, v133
	v_add_f32_e32 v61, v61, v135
	v_mov_b32_e32 v146, v60
	ds_write2_b64 v62, v[64:65], v[112:113] offset0:16 offset1:72
	ds_write2_b64 v62, v[114:115], v[116:117] offset0:128 offset1:184
	v_add_u32_e32 v62, 0x1c00, v68
	v_sub_f32_e32 v136, v96, v136
	v_sub_f32_e32 v137, v101, v137
	;; [unrolled: 1-line block ×4, first 2 shown]
	v_add_f32_e32 v96, v142, v96
	v_add_f32_e32 v101, v143, v101
	v_mul_f32_e32 v75, 0x3f4a47b2, v75
	v_mul_f32_e32 v99, 0x3f4a47b2, v99
	;; [unrolled: 1-line block ×6, first 2 shown]
	v_fmac_f32_e32 v146, 0xbf955555, v134
	v_mov_b32_e32 v134, v61
	ds_write2_b64 v62, v[118:119], v[120:121] offset0:112 offset1:168
	v_add_u32_e32 v62, 0x2000, v63
	v_mul_f32_e32 v144, 0x3f5ff5aa, v132
	v_mul_f32_e32 v145, 0x3f5ff5aa, v133
	v_fmac_f32_e32 v134, 0xbf955555, v135
	v_fma_f32 v135, v140, s15, -v138
	v_fma_f32 v138, v141, s15, -v139
	;; [unrolled: 1-line block ×3, first 2 shown]
	v_fmac_f32_e32 v75, 0x3d64c772, v130
	v_fma_f32 v130, v141, s14, -v99
	v_fmac_f32_e32 v99, 0x3d64c772, v131
	v_fma_f32 v140, v132, s13, -v142
	;; [unrolled: 2-line block ×3, first 2 shown]
	v_fmac_f32_e32 v143, 0x3eae86e6, v137
	ds_write2_b64 v62, v[66:67], v[80:81] offset0:152 offset1:208
	v_add_u32_e32 v62, 0x2800, v63
	v_fma_f32 v144, v136, s16, -v144
	v_fma_f32 v145, v137, s16, -v145
	v_add_f32_e32 v75, v75, v146
	v_add_f32_e32 v99, v99, v134
	v_fmac_f32_e32 v142, 0x3ee1c552, v96
	v_fmac_f32_e32 v143, 0x3ee1c552, v101
	buffer_store_dword v68, off, s[20:23], 0 offset:384 ; 4-byte Folded Spill
	ds_write_b64 v68, v[122:123] offset:8960
	ds_write2_b64 v62, v[84:85], v[88:89] offset0:8 offset1:64
	ds_write2_b64 v62, v[124:125], v[126:127] offset0:120 offset1:176
	buffer_store_dword v63, off, s[20:23], 0 offset:388 ; 4-byte Folded Spill
	ds_write_b64 v63, v[128:129] offset:12096
	v_lshlrev_b32_e32 v63, 3, v74
	v_add_f32_e32 v136, v135, v146
	v_add_f32_e32 v137, v138, v134
	;; [unrolled: 1-line block ×4, first 2 shown]
	v_fmac_f32_e32 v140, 0x3ee1c552, v96
	v_fmac_f32_e32 v141, 0x3ee1c552, v101
	;; [unrolled: 1-line block ×4, first 2 shown]
	v_add_f32_e32 v130, v143, v75
	v_sub_f32_e32 v131, v99, v142
	v_add_u32_e32 v62, 0x3000, v63
	v_add_f32_e32 v132, v145, v138
	v_sub_f32_e32 v133, v139, v144
	v_sub_f32_e32 v134, v136, v141
	v_add_f32_e32 v135, v140, v137
	v_add_f32_e32 v136, v141, v136
	v_sub_f32_e32 v137, v137, v140
	v_sub_f32_e32 v138, v138, v145
	v_add_f32_e32 v139, v144, v139
	v_sub_f32_e32 v140, v75, v143
	v_add_f32_e32 v141, v142, v99
	ds_write2_b64 v62, v[60:61], v[130:131] offset0:32 offset1:88
	ds_write2_b64 v62, v[132:133], v[134:135] offset0:144 offset1:200
	v_add_u32_e32 v60, 0x3800, v63
	v_lshlrev_b32_e32 v64, 3, v95
	ds_write2_b64 v60, v[136:137], v[138:139] offset1:56
	buffer_store_dword v63, off, s[20:23], 0 offset:392 ; 4-byte Folded Spill
	ds_write_b64 v63, v[140:141] offset:15232
	s_waitcnt lgkmcnt(0)
	; wave barrier
	s_waitcnt lgkmcnt(0)
	ds_read2_b64 v[128:131], v255 offset1:56
	ds_read2_b64 v[116:119], v225 offset0:80 offset1:136
	ds_read2_b64 v[74:77], v223 offset0:16 offset1:72
	;; [unrolled: 1-line block ×13, first 2 shown]
	ds_read2_b64 v[240:243], v157 offset1:56
	ds_read2_b64 v[140:143], v148 offset0:160 offset1:216
	ds_read2_b64 v[136:139], v224 offset0:176 offset1:232
	ds_read_b64 v[144:145], v255 offset:15232
	global_load_dwordx4 v[60:63], v64, s[4:5] offset:3120
	s_nop 0
	global_load_dwordx4 v[64:67], v64, s[4:5] offset:3104
	v_lshlrev_b32_e32 v72, 3, v94
	s_waitcnt vmcnt(1) lgkmcnt(14)
	v_mul_f32_e32 v230, v134, v61
	s_waitcnt vmcnt(0)
	v_mul_f32_e32 v68, v119, v65
	v_fma_f32 v233, v118, v64, -v68
	v_mul_f32_e32 v68, v75, v67
	v_fma_f32 v234, v74, v66, -v68
	v_mul_f32_e32 v68, v135, v61
	v_mul_f32_e32 v228, v74, v67
	v_fma_f32 v235, v134, v60, -v68
	s_waitcnt lgkmcnt(13)
	v_mul_f32_e32 v68, v79, v63
	v_fmac_f32_e32 v228, v75, v66
	v_fmac_f32_e32 v230, v135, v60
	v_fma_f32 v135, v78, v62, -v68
	global_load_dwordx4 v[68:71], v72, s[4:5] offset:3120
	s_nop 0
	global_load_dwordx4 v[72:75], v72, s[4:5] offset:3104
	v_mul_f32_e32 v231, v78, v63
	v_fmac_f32_e32 v231, v79, v62
	v_mul_f32_e32 v149, v118, v65
	v_fmac_f32_e32 v149, v119, v64
	v_add_f32_e32 v119, v234, v235
	s_waitcnt vmcnt(1)
	v_mul_f32_e32 v221, v80, v71
	s_waitcnt vmcnt(0) lgkmcnt(12)
	v_mul_f32_e32 v78, v83, v73
	v_fma_f32 v150, v82, v72, -v78
	v_mul_f32_e32 v78, v77, v75
	v_fma_f32 v146, v76, v74, -v78
	v_mul_f32_e32 v218, v76, v75
	s_waitcnt lgkmcnt(11)
	v_mul_f32_e32 v76, v87, v69
	v_fma_f32 v229, v86, v68, -v76
	v_mul_f32_e32 v76, v81, v71
	v_mul_f32_e32 v179, v82, v73
	v_fma_f32 v232, v80, v70, -v76
	v_lshlrev_b32_e32 v80, 3, v98
	v_fmac_f32_e32 v179, v83, v72
	v_fmac_f32_e32 v218, v77, v74
	;; [unrolled: 1-line block ×3, first 2 shown]
	global_load_dwordx4 v[76:79], v80, s[4:5] offset:3120
	s_nop 0
	global_load_dwordx4 v[80:83], v80, s[4:5] offset:3104
	v_mul_f32_e32 v220, v86, v69
	v_fmac_f32_e32 v220, v87, v68
	s_waitcnt vmcnt(1)
	v_mul_f32_e32 v171, v88, v77
	s_waitcnt vmcnt(0)
	v_mul_f32_e32 v86, v85, v81
	v_fma_f32 v180, v84, v80, -v86
	v_mul_f32_e32 v163, v84, v81
	s_waitcnt lgkmcnt(9)
	v_mul_f32_e32 v84, v102, v83
	v_fma_f32 v181, v101, v82, -v84
	v_mul_f32_e32 v84, v89, v77
	v_fma_f32 v219, v88, v76, -v84
	s_waitcnt lgkmcnt(8)
	v_mul_f32_e32 v84, v106, v79
	v_fma_f32 v227, v105, v78, -v84
	v_lshlrev_b32_e32 v84, 3, v97
	v_fmac_f32_e32 v171, v89, v76
	global_load_dwordx4 v[88:91], v84, s[4:5] offset:3120
	global_load_dwordx4 v[92:95], v84, s[4:5] offset:3104
	v_fmac_f32_e32 v163, v85, v80
	global_load_dwordx4 v[96:99], v154, s[4:5] offset:3104
	v_mul_f32_e32 v168, v101, v83
	v_mul_f32_e32 v175, v105, v79
	buffer_store_dword v154, off, s[20:23], 0 offset:276 ; 4-byte Folded Spill
	v_fmac_f32_e32 v175, v106, v78
	v_fmac_f32_e32 v168, v102, v82
	s_waitcnt vmcnt(3) lgkmcnt(6)
	v_mul_f32_e32 v157, v159, v89
	s_waitcnt vmcnt(2)
	v_mul_f32_e32 v84, v110, v93
	v_fma_f32 v164, v109, v92, -v84
	v_mul_f32_e32 v84, v104, v95
	v_fma_f32 v166, v103, v94, -v84
	;; [unrolled: 2-line block ×4, first 2 shown]
	global_load_dwordx4 v[84:87], v154, s[4:5] offset:3120
	v_mul_f32_e32 v153, v109, v93
	v_mul_f32_e32 v155, v103, v95
	v_fmac_f32_e32 v157, v160, v88
	v_mul_f32_e32 v160, v107, v91
	s_waitcnt vmcnt(2)
	v_mul_f32_e32 v101, v112, v97
	v_fmac_f32_e32 v153, v110, v92
	v_fmac_f32_e32 v155, v104, v94
	;; [unrolled: 1-line block ×3, first 2 shown]
	v_fma_f32 v165, v111, v96, -v101
	v_mul_f32_e32 v154, v111, v97
	global_load_dwordx4 v[104:107], v100, s[4:5] offset:3120
	global_load_dwordx4 v[108:111], v100, s[4:5] offset:3104
	s_waitcnt lgkmcnt(4)
	v_mul_f32_e32 v101, v237, v99
	v_fma_f32 v167, v236, v98, -v101
	v_fmac_f32_e32 v154, v112, v96
	global_load_dwordx4 v[112:115], v244, s[4:5] offset:3104
	v_mul_f32_e32 v156, v236, v99
	v_fmac_f32_e32 v156, v237, v98
	buffer_store_dword v244, off, s[20:23], 0 offset:284 ; 4-byte Folded Spill
	s_waitcnt vmcnt(4)
	v_mul_f32_e32 v101, v162, v85
	v_fma_f32 v173, v161, v84, -v101
	s_waitcnt lgkmcnt(3)
	v_mul_f32_e32 v101, v241, v87
	v_fma_f32 v177, v240, v86, -v101
	v_mul_f32_e32 v158, v161, v85
	v_mul_f32_e32 v161, v240, v87
	v_fmac_f32_e32 v161, v241, v86
	v_fmac_f32_e32 v158, v162, v84
	s_waitcnt vmcnt(3) lgkmcnt(1)
	v_mul_f32_e32 v159, v136, v105
	s_waitcnt vmcnt(2)
	v_mul_f32_e32 v100, v141, v109
	v_fma_f32 v169, v140, v108, -v100
	v_mul_f32_e32 v100, v239, v111
	v_fma_f32 v170, v238, v110, -v100
	;; [unrolled: 2-line block ×4, first 2 shown]
	global_load_dwordx4 v[100:103], v244, s[4:5] offset:3120
	s_waitcnt vmcnt(2)
	v_mul_f32_e32 v118, v143, v113
	v_fma_f32 v236, v142, v112, -v118
	v_mul_f32_e32 v142, v142, v113
	v_mul_f32_e32 v118, v133, v115
	v_fmac_f32_e32 v142, v143, v112
	v_fma_f32 v237, v132, v114, -v118
	v_mul_f32_e32 v143, v132, v115
	v_fma_f32 v132, -0.5, v119, v128
	v_sub_f32_e32 v119, v149, v231
	v_mov_b32_e32 v134, v132
	v_fmac_f32_e32 v159, v137, v104
	v_fmac_f32_e32 v143, v133, v114
	;; [unrolled: 1-line block ×3, first 2 shown]
	v_sub_f32_e32 v133, v228, v230
	v_sub_f32_e32 v136, v233, v234
	v_sub_f32_e32 v137, v135, v235
	v_fmac_f32_e32 v132, 0xbf737871, v119
	v_mul_f32_e32 v140, v140, v109
	v_fmac_f32_e32 v134, 0x3f167918, v133
	v_add_f32_e32 v136, v136, v137
	v_fmac_f32_e32 v132, 0xbf167918, v133
	v_fmac_f32_e32 v140, v141, v108
	v_mul_f32_e32 v141, v238, v111
	v_fmac_f32_e32 v134, 0x3e9e377a, v136
	v_fmac_f32_e32 v132, 0x3e9e377a, v136
	v_add_f32_e32 v136, v233, v135
	v_fmac_f32_e32 v141, v239, v110
	v_sub_f32_e32 v137, v234, v233
	v_mul_f32_e32 v162, v242, v107
	v_fmac_f32_e32 v162, v243, v106
	s_movk_i32 s4, 0x3d40
	s_waitcnt vmcnt(0)
	v_mul_f32_e32 v118, v139, v101
	v_fma_f32 v238, v138, v100, -v118
	s_waitcnt lgkmcnt(0)
	v_mul_f32_e32 v118, v145, v103
	v_fma_f32 v239, v144, v102, -v118
	v_add_f32_e32 v118, v128, v233
	v_fma_f32 v128, -0.5, v136, v128
	v_mov_b32_e32 v136, v128
	v_mul_f32_e32 v138, v138, v101
	v_add_f32_e32 v118, v118, v234
	v_fmac_f32_e32 v136, 0xbf737871, v133
	v_fmac_f32_e32 v128, 0x3f737871, v133
	v_add_f32_e32 v133, v228, v230
	v_fmac_f32_e32 v138, v139, v100
	v_mul_f32_e32 v139, v144, v103
	v_add_f32_e32 v118, v118, v235
	v_sub_f32_e32 v144, v235, v135
	v_fma_f32 v133, -0.5, v133, v129
	v_add_f32_e32 v118, v118, v135
	v_fmac_f32_e32 v136, 0x3f167918, v119
	v_add_f32_e32 v137, v137, v144
	v_fmac_f32_e32 v128, 0xbf167918, v119
	v_sub_f32_e32 v144, v233, v135
	v_mov_b32_e32 v135, v133
	v_fmac_f32_e32 v139, v145, v102
	v_fmac_f32_e32 v136, 0x3e9e377a, v137
	;; [unrolled: 1-line block ×4, first 2 shown]
	v_sub_f32_e32 v145, v234, v235
	v_sub_f32_e32 v137, v149, v228
	;; [unrolled: 1-line block ×3, first 2 shown]
	v_fmac_f32_e32 v133, 0x3f737871, v144
	v_fmac_f32_e32 v135, 0xbf167918, v145
	v_add_f32_e32 v137, v137, v233
	v_fmac_f32_e32 v133, 0x3f167918, v145
	v_fmac_f32_e32 v135, 0x3e9e377a, v137
	;; [unrolled: 1-line block ×3, first 2 shown]
	v_add_f32_e32 v137, v149, v231
	v_add_f32_e32 v119, v129, v149
	v_fma_f32 v129, -0.5, v137, v129
	v_mov_b32_e32 v137, v129
	v_add_f32_e32 v119, v119, v228
	v_fmac_f32_e32 v137, 0x3f737871, v145
	v_sub_f32_e32 v149, v228, v149
	v_sub_f32_e32 v228, v230, v231
	v_fmac_f32_e32 v129, 0xbf737871, v145
	v_add_f32_e32 v145, v146, v229
	v_add_f32_e32 v119, v119, v230
	v_fmac_f32_e32 v137, 0xbf167918, v144
	v_add_f32_e32 v149, v149, v228
	v_fmac_f32_e32 v129, 0x3f167918, v144
	v_fma_f32 v230, -0.5, v145, v130
	v_fmac_f32_e32 v137, 0x3e9e377a, v149
	v_fmac_f32_e32 v129, 0x3e9e377a, v149
	v_sub_f32_e32 v145, v179, v221
	v_mov_b32_e32 v149, v230
	v_add_f32_e32 v119, v119, v231
	v_fmac_f32_e32 v149, 0x3f737871, v145
	v_sub_f32_e32 v231, v218, v220
	v_sub_f32_e32 v228, v150, v146
	;; [unrolled: 1-line block ×3, first 2 shown]
	v_fmac_f32_e32 v230, 0xbf737871, v145
	v_fmac_f32_e32 v149, 0x3f167918, v231
	v_add_f32_e32 v228, v228, v233
	v_fmac_f32_e32 v230, 0xbf167918, v231
	v_fmac_f32_e32 v149, 0x3e9e377a, v228
	;; [unrolled: 1-line block ×3, first 2 shown]
	v_add_f32_e32 v228, v150, v232
	v_add_f32_e32 v144, v130, v150
	v_fma_f32 v130, -0.5, v228, v130
	v_mov_b32_e32 v228, v130
	v_add_f32_e32 v144, v144, v146
	v_fmac_f32_e32 v228, 0xbf737871, v231
	v_fmac_f32_e32 v130, 0x3f737871, v231
	v_add_f32_e32 v231, v218, v220
	v_add_f32_e32 v144, v144, v229
	v_sub_f32_e32 v233, v146, v150
	v_sub_f32_e32 v234, v229, v232
	v_fma_f32 v231, -0.5, v231, v131
	v_add_f32_e32 v144, v144, v232
	v_fmac_f32_e32 v228, 0x3f167918, v145
	v_add_f32_e32 v233, v233, v234
	v_fmac_f32_e32 v130, 0xbf167918, v145
	v_sub_f32_e32 v232, v150, v232
	v_mov_b32_e32 v150, v231
	v_fmac_f32_e32 v228, 0x3e9e377a, v233
	v_fmac_f32_e32 v130, 0x3e9e377a, v233
	;; [unrolled: 1-line block ×3, first 2 shown]
	v_sub_f32_e32 v146, v146, v229
	v_sub_f32_e32 v229, v179, v218
	;; [unrolled: 1-line block ×3, first 2 shown]
	v_fmac_f32_e32 v231, 0x3f737871, v232
	v_fmac_f32_e32 v150, 0xbf167918, v146
	v_add_f32_e32 v229, v229, v233
	v_fmac_f32_e32 v231, 0x3f167918, v146
	v_fmac_f32_e32 v150, 0x3e9e377a, v229
	;; [unrolled: 1-line block ×3, first 2 shown]
	v_add_f32_e32 v229, v179, v221
	v_add_f32_e32 v145, v131, v179
	v_fmac_f32_e32 v131, -0.5, v229
	v_mov_b32_e32 v229, v131
	v_fmac_f32_e32 v229, 0x3f737871, v146
	v_fmac_f32_e32 v131, 0xbf737871, v146
	v_add_f32_e32 v146, v124, v180
	v_add_f32_e32 v146, v146, v181
	;; [unrolled: 1-line block ×4, first 2 shown]
	v_fmac_f32_e32 v229, 0xbf167918, v232
	v_sub_f32_e32 v179, v218, v179
	v_sub_f32_e32 v218, v220, v221
	v_fmac_f32_e32 v131, 0x3f167918, v232
	v_add_f32_e32 v232, v146, v227
	v_add_f32_e32 v146, v181, v219
	;; [unrolled: 1-line block ×3, first 2 shown]
	v_fma_f32 v234, -0.5, v146, v124
	v_add_f32_e32 v145, v145, v220
	v_fmac_f32_e32 v229, 0x3e9e377a, v179
	v_fmac_f32_e32 v131, 0x3e9e377a, v179
	v_sub_f32_e32 v146, v163, v175
	v_mov_b32_e32 v179, v234
	v_add_f32_e32 v145, v145, v221
	v_fmac_f32_e32 v179, 0x3f737871, v146
	v_sub_f32_e32 v218, v168, v171
	v_sub_f32_e32 v220, v180, v181
	;; [unrolled: 1-line block ×3, first 2 shown]
	v_fmac_f32_e32 v234, 0xbf737871, v146
	v_fmac_f32_e32 v179, 0x3f167918, v218
	v_add_f32_e32 v220, v220, v221
	v_fmac_f32_e32 v234, 0xbf167918, v218
	v_fmac_f32_e32 v179, 0x3e9e377a, v220
	;; [unrolled: 1-line block ×3, first 2 shown]
	v_add_f32_e32 v220, v180, v227
	v_fma_f32 v124, -0.5, v220, v124
	v_mov_b32_e32 v240, v124
	v_fmac_f32_e32 v240, 0xbf737871, v218
	v_fmac_f32_e32 v124, 0x3f737871, v218
	v_fmac_f32_e32 v240, 0x3f167918, v146
	v_fmac_f32_e32 v124, 0xbf167918, v146
	v_add_f32_e32 v146, v125, v163
	v_add_f32_e32 v146, v146, v168
	;; [unrolled: 1-line block ×5, first 2 shown]
	v_fma_f32 v235, -0.5, v146, v125
	v_sub_f32_e32 v220, v181, v180
	v_sub_f32_e32 v146, v180, v227
	v_mov_b32_e32 v180, v235
	v_sub_f32_e32 v221, v219, v227
	v_fmac_f32_e32 v180, 0xbf737871, v146
	v_sub_f32_e32 v181, v181, v219
	v_sub_f32_e32 v218, v163, v168
	;; [unrolled: 1-line block ×3, first 2 shown]
	v_fmac_f32_e32 v235, 0x3f737871, v146
	v_fmac_f32_e32 v180, 0xbf167918, v181
	v_add_f32_e32 v218, v218, v219
	v_fmac_f32_e32 v235, 0x3f167918, v181
	v_fmac_f32_e32 v180, 0x3e9e377a, v218
	;; [unrolled: 1-line block ×3, first 2 shown]
	v_add_f32_e32 v218, v163, v175
	v_fma_f32 v125, -0.5, v218, v125
	v_mov_b32_e32 v241, v125
	v_fmac_f32_e32 v241, 0x3f737871, v181
	v_fmac_f32_e32 v125, 0xbf737871, v181
	;; [unrolled: 1-line block ×4, first 2 shown]
	v_add_f32_e32 v146, v126, v164
	v_add_f32_e32 v146, v146, v166
	;; [unrolled: 1-line block ×3, first 2 shown]
	v_sub_f32_e32 v163, v168, v163
	v_sub_f32_e32 v168, v171, v175
	v_add_f32_e32 v242, v146, v176
	v_add_f32_e32 v146, v166, v172
	;; [unrolled: 1-line block ×3, first 2 shown]
	v_fma_f32 v244, -0.5, v146, v126
	v_fmac_f32_e32 v241, 0x3e9e377a, v163
	v_fmac_f32_e32 v125, 0x3e9e377a, v163
	v_sub_f32_e32 v146, v153, v160
	v_mov_b32_e32 v163, v244
	v_fmac_f32_e32 v163, 0x3f737871, v146
	v_sub_f32_e32 v168, v155, v157
	v_sub_f32_e32 v171, v164, v166
	;; [unrolled: 1-line block ×3, first 2 shown]
	v_fmac_f32_e32 v244, 0xbf737871, v146
	v_fmac_f32_e32 v163, 0x3f167918, v168
	v_add_f32_e32 v171, v171, v175
	v_fmac_f32_e32 v244, 0xbf167918, v168
	v_fmac_f32_e32 v163, 0x3e9e377a, v171
	;; [unrolled: 1-line block ×3, first 2 shown]
	v_add_f32_e32 v171, v164, v176
	v_fma_f32 v126, -0.5, v171, v126
	v_mov_b32_e32 v171, v126
	v_fmac_f32_e32 v171, 0xbf737871, v168
	v_fmac_f32_e32 v126, 0x3f737871, v168
	;; [unrolled: 1-line block ×4, first 2 shown]
	v_add_f32_e32 v146, v127, v153
	v_add_f32_e32 v146, v146, v155
	;; [unrolled: 1-line block ×5, first 2 shown]
	v_mov_b32_e32 v227, v245
	v_fma_f32 v245, -0.5, v146, v127
	v_sub_f32_e32 v175, v166, v164
	v_sub_f32_e32 v146, v164, v176
	v_mov_b32_e32 v164, v245
	v_sub_f32_e32 v181, v172, v176
	v_fmac_f32_e32 v164, 0xbf737871, v146
	v_sub_f32_e32 v166, v166, v172
	v_sub_f32_e32 v168, v153, v155
	;; [unrolled: 1-line block ×3, first 2 shown]
	v_fmac_f32_e32 v245, 0x3f737871, v146
	v_fmac_f32_e32 v164, 0xbf167918, v166
	v_add_f32_e32 v168, v168, v172
	v_fmac_f32_e32 v245, 0x3f167918, v166
	v_fmac_f32_e32 v164, 0x3e9e377a, v168
	;; [unrolled: 1-line block ×3, first 2 shown]
	v_add_f32_e32 v168, v153, v160
	v_fmac_f32_e32 v127, -0.5, v168
	v_mov_b32_e32 v172, v127
	v_fmac_f32_e32 v172, 0x3f737871, v166
	v_fmac_f32_e32 v127, 0xbf737871, v166
	;; [unrolled: 1-line block ×4, first 2 shown]
	v_add_f32_e32 v146, v120, v165
	v_add_f32_e32 v146, v146, v167
	;; [unrolled: 1-line block ×4, first 2 shown]
	v_fmac_f32_e32 v171, 0x3e9e377a, v175
	v_fmac_f32_e32 v126, 0x3e9e377a, v175
	v_add_f32_e32 v175, v146, v177
	v_add_f32_e32 v146, v167, v173
	v_sub_f32_e32 v153, v155, v153
	v_sub_f32_e32 v155, v157, v160
	v_fma_f32 v246, -0.5, v146, v120
	v_add_f32_e32 v153, v153, v155
	v_sub_f32_e32 v146, v154, v161
	v_mov_b32_e32 v248, v246
	v_fmac_f32_e32 v172, 0x3e9e377a, v153
	v_fmac_f32_e32 v127, 0x3e9e377a, v153
	;; [unrolled: 1-line block ×3, first 2 shown]
	v_sub_f32_e32 v153, v156, v158
	v_sub_f32_e32 v155, v165, v167
	;; [unrolled: 1-line block ×3, first 2 shown]
	v_fmac_f32_e32 v246, 0xbf737871, v146
	v_fmac_f32_e32 v248, 0x3f167918, v153
	v_add_f32_e32 v155, v155, v157
	v_fmac_f32_e32 v246, 0xbf167918, v153
	v_fmac_f32_e32 v248, 0x3e9e377a, v155
	;; [unrolled: 1-line block ×3, first 2 shown]
	v_add_f32_e32 v155, v165, v177
	v_fma_f32 v120, -0.5, v155, v120
	v_mov_b32_e32 v166, v120
	v_fmac_f32_e32 v166, 0xbf737871, v153
	v_fmac_f32_e32 v120, 0x3f737871, v153
	;; [unrolled: 1-line block ×4, first 2 shown]
	v_add_f32_e32 v146, v121, v154
	v_add_f32_e32 v146, v146, v156
	;; [unrolled: 1-line block ×5, first 2 shown]
	v_sub_f32_e32 v155, v167, v165
	v_sub_f32_e32 v157, v173, v177
	v_fma_f32 v247, -0.5, v146, v121
	v_add_f32_e32 v155, v155, v157
	v_sub_f32_e32 v146, v165, v177
	v_mov_b32_e32 v249, v247
	v_fmac_f32_e32 v166, 0x3e9e377a, v155
	v_fmac_f32_e32 v120, 0x3e9e377a, v155
	v_fmac_f32_e32 v249, 0xbf737871, v146
	v_sub_f32_e32 v153, v167, v173
	v_sub_f32_e32 v155, v154, v156
	;; [unrolled: 1-line block ×3, first 2 shown]
	v_fmac_f32_e32 v247, 0x3f737871, v146
	v_fmac_f32_e32 v249, 0xbf167918, v153
	v_add_f32_e32 v155, v155, v157
	v_fmac_f32_e32 v247, 0x3f167918, v153
	v_fmac_f32_e32 v249, 0x3e9e377a, v155
	;; [unrolled: 1-line block ×3, first 2 shown]
	v_add_f32_e32 v155, v154, v161
	v_fma_f32 v121, -0.5, v155, v121
	v_mov_b32_e32 v167, v121
	v_fmac_f32_e32 v167, 0x3f737871, v153
	v_fmac_f32_e32 v121, 0xbf737871, v153
	;; [unrolled: 1-line block ×4, first 2 shown]
	v_add_f32_e32 v146, v122, v169
	v_add_f32_e32 v146, v146, v170
	;; [unrolled: 1-line block ×3, first 2 shown]
	v_sub_f32_e32 v154, v156, v154
	v_sub_f32_e32 v155, v158, v161
	v_add_f32_e32 v153, v146, v178
	v_add_f32_e32 v146, v170, v174
	;; [unrolled: 1-line block ×3, first 2 shown]
	v_fma_f32 v155, -0.5, v146, v122
	v_sub_f32_e32 v146, v140, v162
	v_mov_b32_e32 v157, v155
	v_fmac_f32_e32 v167, 0x3e9e377a, v154
	v_fmac_f32_e32 v121, 0x3e9e377a, v154
	;; [unrolled: 1-line block ×3, first 2 shown]
	v_sub_f32_e32 v154, v141, v159
	v_sub_f32_e32 v156, v169, v170
	;; [unrolled: 1-line block ×3, first 2 shown]
	v_fmac_f32_e32 v155, 0xbf737871, v146
	v_fmac_f32_e32 v157, 0x3f167918, v154
	v_add_f32_e32 v156, v156, v158
	v_fmac_f32_e32 v155, 0xbf167918, v154
	v_fmac_f32_e32 v157, 0x3e9e377a, v156
	;; [unrolled: 1-line block ×3, first 2 shown]
	v_add_f32_e32 v156, v169, v178
	v_fma_f32 v122, -0.5, v156, v122
	v_mov_b32_e32 v160, v122
	v_fmac_f32_e32 v160, 0xbf737871, v154
	v_fmac_f32_e32 v122, 0x3f737871, v154
	;; [unrolled: 1-line block ×4, first 2 shown]
	v_add_f32_e32 v146, v123, v140
	v_add_f32_e32 v146, v146, v141
	v_sub_f32_e32 v156, v170, v169
	v_sub_f32_e32 v158, v174, v178
	v_add_f32_e32 v146, v146, v159
	v_add_f32_e32 v156, v156, v158
	;; [unrolled: 1-line block ×4, first 2 shown]
	v_fmac_f32_e32 v160, 0x3e9e377a, v156
	v_fmac_f32_e32 v122, 0x3e9e377a, v156
	v_fma_f32 v156, -0.5, v146, v123
	v_sub_f32_e32 v146, v169, v178
	v_mov_b32_e32 v158, v156
	v_fmac_f32_e32 v158, 0xbf737871, v146
	v_sub_f32_e32 v165, v170, v174
	v_sub_f32_e32 v161, v140, v141
	;; [unrolled: 1-line block ×3, first 2 shown]
	v_fmac_f32_e32 v156, 0x3f737871, v146
	v_fmac_f32_e32 v158, 0xbf167918, v165
	v_add_f32_e32 v161, v161, v168
	v_fmac_f32_e32 v156, 0x3f167918, v165
	v_fmac_f32_e32 v158, 0x3e9e377a, v161
	;; [unrolled: 1-line block ×3, first 2 shown]
	v_add_f32_e32 v161, v140, v162
	v_sub_f32_e32 v140, v141, v140
	v_sub_f32_e32 v141, v159, v162
	v_add_f32_e32 v220, v220, v221
	v_fmac_f32_e32 v123, -0.5, v161
	v_add_f32_e32 v140, v140, v141
	v_add_f32_e32 v141, v237, v238
	v_fmac_f32_e32 v240, 0x3e9e377a, v220
	v_fmac_f32_e32 v124, 0x3e9e377a, v220
	v_mov_b32_e32 v161, v123
	v_fma_f32 v220, -0.5, v141, v116
	v_fmac_f32_e32 v161, 0x3f737871, v165
	v_fmac_f32_e32 v123, 0xbf737871, v165
	v_sub_f32_e32 v141, v142, v139
	v_mov_b32_e32 v168, v220
	v_fmac_f32_e32 v161, 0xbf167918, v146
	v_fmac_f32_e32 v123, 0x3f167918, v146
	;; [unrolled: 1-line block ×3, first 2 shown]
	v_sub_f32_e32 v146, v143, v138
	v_sub_f32_e32 v159, v236, v237
	;; [unrolled: 1-line block ×3, first 2 shown]
	v_fmac_f32_e32 v220, 0xbf737871, v141
	v_fmac_f32_e32 v168, 0x3f167918, v146
	v_add_f32_e32 v159, v159, v162
	v_fmac_f32_e32 v220, 0xbf167918, v146
	v_fmac_f32_e32 v168, 0x3e9e377a, v159
	;; [unrolled: 1-line block ×3, first 2 shown]
	v_add_f32_e32 v159, v236, v239
	v_fmac_f32_e32 v161, 0x3e9e377a, v140
	v_fmac_f32_e32 v123, 0x3e9e377a, v140
	v_add_f32_e32 v140, v116, v236
	v_fma_f32 v116, -0.5, v159, v116
	v_mov_b32_e32 v218, v116
	v_fmac_f32_e32 v218, 0xbf737871, v146
	v_fmac_f32_e32 v116, 0x3f737871, v146
	v_add_f32_e32 v146, v143, v138
	v_sub_f32_e32 v159, v237, v236
	v_sub_f32_e32 v162, v238, v239
	v_fma_f32 v221, -0.5, v146, v117
	v_fmac_f32_e32 v218, 0x3f167918, v141
	v_add_f32_e32 v159, v159, v162
	v_fmac_f32_e32 v116, 0xbf167918, v141
	v_sub_f32_e32 v146, v236, v239
	v_mov_b32_e32 v169, v221
	v_fmac_f32_e32 v218, 0x3e9e377a, v159
	v_fmac_f32_e32 v116, 0x3e9e377a, v159
	;; [unrolled: 1-line block ×3, first 2 shown]
	v_sub_f32_e32 v159, v237, v238
	v_sub_f32_e32 v162, v142, v143
	;; [unrolled: 1-line block ×3, first 2 shown]
	v_fmac_f32_e32 v221, 0x3f737871, v146
	v_add_f32_e32 v141, v117, v142
	v_fmac_f32_e32 v169, 0xbf167918, v159
	v_add_f32_e32 v162, v162, v165
	;; [unrolled: 2-line block ×3, first 2 shown]
	v_add_f32_e32 v141, v141, v143
	v_fmac_f32_e32 v169, 0x3e9e377a, v162
	v_fmac_f32_e32 v221, 0x3e9e377a, v162
	v_add_f32_e32 v162, v142, v139
	v_add_f32_e32 v140, v140, v238
	;; [unrolled: 1-line block ×3, first 2 shown]
	v_fmac_f32_e32 v117, -0.5, v162
	ds_write_b64 v255, v[134:135] offset:3136
	ds_write_b64 v255, v[136:137] offset:6272
	ds_write_b64 v255, v[128:129] offset:9408
	ds_write_b64 v255, v[132:133] offset:12544
	ds_write2_b64 v255, v[118:119], v[144:145] offset1:56
	ds_write_b64 v255, v[228:229] offset:6720
	v_add_u32_e32 v118, 0x1c00, v255
	v_add_f32_e32 v140, v140, v239
	v_add_f32_e32 v141, v141, v139
	v_mov_b32_e32 v219, v117
	ds_write_b64 v255, v[130:131] offset:9856
	ds_write_b64 v255, v[230:231] offset:12992
	ds_write2_b64 v225, v[149:150], v[179:180] offset0:192 offset1:248
	ds_write_b64 v255, v[124:125] offset:10304
	ds_write_b64 v255, v[234:235] offset:13440
	ds_write2_b64 v255, v[232:233], v[242:243] offset0:112 offset1:168
	ds_write2_b64 v223, v[240:241], v[171:172] offset0:128 offset1:184
	ds_write_b64 v255, v[126:127] offset:10752
	ds_write_b64 v255, v[244:245] offset:13888
	ds_write2_b64 v148, v[163:164], v[248:249] offset0:48 offset1:104
	ds_write_b64 v255, v[120:121] offset:11200
	ds_write_b64 v255, v[246:247] offset:14336
	ds_write2_b64 v227, v[175:176], v[153:154] offset0:96 offset1:152
	ds_write2_b64 v118, v[166:167], v[160:161] offset0:112 offset1:168
	ds_write_b64 v255, v[122:123] offset:11648
	ds_write_b64 v255, v[155:156] offset:14784
	;; [unrolled: 1-line block ×3, first 2 shown]
	ds_write2_b64 v148, v[157:158], v[168:169] offset0:160 offset1:216
	v_mov_b32_e32 v157, v118
	v_add_co_u32_e32 v118, vcc, s4, v151
	v_fmac_f32_e32 v219, 0x3f737871, v159
	v_sub_f32_e32 v142, v143, v142
	v_sub_f32_e32 v138, v138, v139
	v_addc_co_u32_e32 v119, vcc, 0, v152, vcc
	v_fmac_f32_e32 v219, 0xbf167918, v146
	v_add_f32_e32 v138, v142, v138
	v_fmac_f32_e32 v117, 0xbf737871, v159
	v_add_co_u32_e32 v120, vcc, s12, v151
	v_fmac_f32_e32 v219, 0x3e9e377a, v138
	v_fmac_f32_e32 v117, 0x3f167918, v146
	v_addc_co_u32_e32 v121, vcc, 0, v152, vcc
	v_fmac_f32_e32 v117, 0x3e9e377a, v138
	ds_write_b64 v255, v[218:219] offset:8960
	ds_write_b64 v255, v[116:117] offset:12096
	;; [unrolled: 1-line block ×3, first 2 shown]
	s_waitcnt lgkmcnt(0)
	; wave barrier
	s_waitcnt lgkmcnt(0)
	global_load_dwordx2 v[120:121], v[120:121], off offset:3392
	ds_read2_b64 v[128:131], v255 offset1:56
	v_add_u32_e32 v132, 0xc00, v255
	s_movk_i32 s4, 0x5000
	v_add_co_u32_e32 v124, vcc, s4, v151
	v_addc_co_u32_e32 v125, vcc, 0, v152, vcc
	s_movk_i32 s4, 0x6000
	v_add_u32_e32 v228, 0x3800, v255
	s_waitcnt vmcnt(0) lgkmcnt(0)
	v_mul_f32_e32 v122, v129, v121
	v_mul_f32_e32 v123, v128, v121
	v_fma_f32 v122, v128, v120, -v122
	v_fmac_f32_e32 v123, v129, v120
	global_load_dwordx2 v[120:121], v[118:119], off offset:3920
	ds_write_b64 v255, v[122:123]
	ds_read2_b64 v[133:136], v132 offset0:106 offset1:162
	ds_read2_b64 v[137:140], v157 offset0:84 offset1:140
	;; [unrolled: 1-line block ×4, first 2 shown]
	s_waitcnt vmcnt(0) lgkmcnt(3)
	v_mul_f32_e32 v122, v134, v121
	v_mul_f32_e32 v129, v133, v121
	v_fma_f32 v128, v133, v120, -v122
	v_fmac_f32_e32 v129, v134, v120
	global_load_dwordx2 v[120:121], v[124:125], off offset:3040
	s_waitcnt vmcnt(0) lgkmcnt(2)
	v_mul_f32_e32 v122, v138, v121
	v_mul_f32_e32 v127, v137, v121
	v_fma_f32 v126, v137, v120, -v122
	v_fmac_f32_e32 v127, v138, v120
	v_add_co_u32_e32 v120, vcc, s4, v151
	v_addc_co_u32_e32 v121, vcc, 0, v152, vcc
	global_load_dwordx2 v[133:134], v[120:121], off offset:2864
	s_movk_i32 s4, 0x4000
	s_waitcnt vmcnt(0) lgkmcnt(1)
	v_mul_f32_e32 v122, v142, v134
	v_mul_f32_e32 v123, v141, v134
	v_fma_f32 v122, v141, v133, -v122
	v_fmac_f32_e32 v123, v142, v133
	global_load_dwordx2 v[133:134], v[118:119], off offset:448
	s_waitcnt vmcnt(0)
	v_mul_f32_e32 v137, v131, v134
	v_fma_f32 v137, v130, v133, -v137
	v_mul_f32_e32 v138, v130, v134
	v_add_co_u32_e32 v130, vcc, s4, v151
	v_fmac_f32_e32 v138, v131, v133
	v_addc_co_u32_e32 v131, vcc, 0, v152, vcc
	global_load_dwordx2 v[130:131], v[130:131], off offset:3664
	s_movk_i32 s4, 0x7000
	s_waitcnt vmcnt(0)
	v_mul_f32_e32 v133, v136, v131
	v_mul_f32_e32 v142, v135, v131
	v_fma_f32 v141, v135, v130, -v133
	v_fmac_f32_e32 v142, v136, v130
	global_load_dwordx2 v[130:131], v[124:125], off offset:3488
	s_waitcnt vmcnt(0)
	v_mul_f32_e32 v133, v140, v131
	v_mul_f32_e32 v146, v139, v131
	v_fma_f32 v145, v139, v130, -v133
	v_fmac_f32_e32 v146, v140, v130
	global_load_dwordx2 v[130:131], v[120:121], off offset:3312
	;; [unrolled: 6-line block ×3, first 2 shown]
	ds_read2_b64 v[133:136], v255 offset0:112 offset1:168
	s_waitcnt vmcnt(0) lgkmcnt(0)
	v_mul_f32_e32 v139, v134, v131
	v_mul_f32_e32 v140, v133, v131
	v_fma_f32 v139, v133, v130, -v139
	v_fmac_f32_e32 v140, v134, v130
	global_load_dwordx2 v[130:131], v[124:125], off offset:16
	ds_write2_b64 v255, v[137:138], v[139:140] offset0:56 offset1:112
	ds_read2_b64 v[137:140], v148 offset0:90 offset1:146
	s_waitcnt vmcnt(0) lgkmcnt(0)
	v_mul_f32_e32 v133, v138, v131
	v_mul_f32_e32 v134, v137, v131
	v_fma_f32 v133, v137, v130, -v133
	v_fmac_f32_e32 v134, v138, v130
	global_load_dwordx2 v[130:131], v[124:125], off offset:3936
	ds_write2_b64 v148, v[141:142], v[133:134] offset0:34 offset1:90
	;; [unrolled: 8-line block ×3, first 2 shown]
	s_waitcnt vmcnt(0)
	v_mul_f32_e32 v133, v154, v131
	v_mul_f32_e32 v134, v153, v131
	v_fma_f32 v133, v153, v130, -v133
	v_fmac_f32_e32 v134, v154, v130
	v_add_u32_e32 v130, 0x2c00, v255
	ds_write2_b64 v130, v[149:150], v[133:134] offset0:118 offset1:174
	global_load_dwordx2 v[130:131], v[118:119], off offset:1344
	s_waitcnt vmcnt(0)
	v_mul_f32_e32 v133, v136, v131
	v_mul_f32_e32 v138, v135, v131
	v_fma_f32 v137, v135, v130, -v133
	v_fmac_f32_e32 v138, v136, v130
	global_load_dwordx2 v[130:131], v[124:125], off offset:464
	s_waitcnt vmcnt(0)
	v_mul_f32_e32 v133, v140, v131
	v_mul_f32_e32 v142, v139, v131
	v_fma_f32 v141, v139, v130, -v133
	v_fmac_f32_e32 v142, v140, v130
	global_load_dwordx2 v[130:131], v[120:121], off offset:288
	global_load_dwordx2 v[139:140], v[118:119], off offset:1792
	s_waitcnt vmcnt(1)
	v_mul_f32_e32 v133, v144, v131
	v_mul_f32_e32 v146, v143, v131
	v_fma_f32 v145, v143, v130, -v133
	v_fmac_f32_e32 v146, v144, v130
	v_add_co_u32_e32 v130, vcc, s4, v151
	v_addc_co_u32_e32 v131, vcc, 0, v152, vcc
	global_load_dwordx2 v[133:134], v[130:131], off offset:112
	s_waitcnt vmcnt(0)
	v_mul_f32_e32 v135, v156, v134
	v_mul_f32_e32 v154, v155, v134
	v_fma_f32 v153, v155, v133, -v135
	v_fmac_f32_e32 v154, v156, v133
	ds_read2_b64 v[133:136], v227 offset0:96 offset1:152
	s_waitcnt lgkmcnt(0)
	v_mul_f32_e32 v143, v134, v140
	v_mul_f32_e32 v144, v133, v140
	v_fma_f32 v143, v133, v139, -v143
	v_fmac_f32_e32 v144, v134, v139
	ds_write2_b64 v255, v[137:138], v[143:144] offset0:168 offset1:224
	global_load_dwordx2 v[143:144], v[124:125], off offset:912
	v_add_u32_e32 v133, 0x1400, v255
	ds_read2_b64 v[137:140], v133 offset0:74 offset1:130
	s_waitcnt vmcnt(0) lgkmcnt(0)
	v_mul_f32_e32 v134, v138, v144
	v_mul_f32_e32 v150, v137, v144
	v_fma_f32 v149, v137, v143, -v134
	v_fmac_f32_e32 v150, v138, v143
	global_load_dwordx2 v[137:138], v[120:121], off offset:736
	ds_write2_b64 v148, v[141:142], v[149:150] offset0:146 offset1:202
	ds_read2_b64 v[141:144], v147 offset0:180 offset1:236
	s_waitcnt vmcnt(0) lgkmcnt(0)
	v_mul_f32_e32 v134, v142, v138
	v_mul_f32_e32 v150, v141, v138
	v_fma_f32 v149, v141, v137, -v134
	v_fmac_f32_e32 v150, v142, v137
	global_load_dwordx2 v[137:138], v[130:131], off offset:560
	ds_write2_b64 v147, v[145:146], v[149:150] offset0:124 offset1:180
	;; [unrolled: 8-line block ×3, first 2 shown]
	s_waitcnt vmcnt(0)
	v_mul_f32_e32 v134, v136, v138
	v_fma_f32 v141, v135, v137, -v134
	v_mul_f32_e32 v142, v135, v138
	global_load_dwordx2 v[134:135], v[124:125], off offset:1360
	v_fmac_f32_e32 v142, v136, v137
	s_waitcnt vmcnt(0)
	v_mul_f32_e32 v136, v140, v135
	v_mul_f32_e32 v146, v139, v135
	v_fma_f32 v145, v139, v134, -v136
	v_fmac_f32_e32 v146, v140, v134
	global_load_dwordx2 v[134:135], v[120:121], off offset:1184
	global_load_dwordx2 v[138:139], v[118:119], off offset:2688
	s_waitcnt vmcnt(1)
	v_mul_f32_e32 v136, v144, v135
	v_mul_f32_e32 v150, v143, v135
	v_fma_f32 v149, v143, v134, -v136
	v_fmac_f32_e32 v150, v144, v134
	global_load_dwordx2 v[134:135], v[130:131], off offset:1008
	s_waitcnt vmcnt(0)
	v_mul_f32_e32 v136, v152, v135
	v_mul_f32_e32 v154, v151, v135
	v_fma_f32 v153, v151, v134, -v136
	v_fmac_f32_e32 v154, v152, v134
	ds_read2_b64 v[134:137], v225 offset0:80 offset1:136
	s_waitcnt lgkmcnt(0)
	v_mul_f32_e32 v140, v135, v139
	v_mul_f32_e32 v144, v134, v139
	v_fma_f32 v143, v134, v138, -v140
	v_fmac_f32_e32 v144, v135, v138
	global_load_dwordx2 v[134:135], v[124:125], off offset:1808
	ds_write2_b64 v225, v[141:142], v[143:144] offset0:24 offset1:80
	ds_read2_b64 v[138:141], v223 offset0:58 offset1:114
	global_load_dwordx2 v[124:125], v[124:125], off offset:2256
	s_waitcnt vmcnt(1) lgkmcnt(0)
	v_mul_f32_e32 v142, v139, v135
	v_mul_f32_e32 v143, v138, v135
	v_fma_f32 v142, v138, v134, -v142
	v_fmac_f32_e32 v143, v139, v134
	global_load_dwordx2 v[134:135], v[120:121], off offset:1632
	ds_write2_b64 v223, v[145:146], v[142:143] offset0:2 offset1:58
	ds_read2_b64 v[142:145], v224 offset0:36 offset1:92
	global_load_dwordx2 v[120:121], v[120:121], off offset:2080
	s_waitcnt vmcnt(1) lgkmcnt(0)
	v_mul_f32_e32 v138, v143, v135
	v_mul_f32_e32 v139, v142, v135
	v_fma_f32 v138, v142, v134, -v138
	v_fmac_f32_e32 v139, v143, v134
	v_add_u32_e32 v134, 0x2400, v255
	ds_write2_b64 v134, v[149:150], v[138:139] offset0:108 offset1:164
	global_load_dwordx2 v[134:135], v[130:131], off offset:1456
	ds_read2_b64 v[149:152], v228 offset0:14 offset1:70
	s_waitcnt vmcnt(0) lgkmcnt(0)
	v_mul_f32_e32 v138, v150, v135
	v_mul_f32_e32 v139, v149, v135
	v_fma_f32 v138, v149, v134, -v138
	v_fmac_f32_e32 v139, v150, v134
	v_add_u32_e32 v134, 0x3400, v255
	ds_write2_b64 v134, v[153:154], v[138:139] offset0:86 offset1:142
	global_load_dwordx2 v[134:135], v[118:119], off offset:3136
	s_waitcnt vmcnt(0)
	v_mul_f32_e32 v138, v137, v135
	v_mul_f32_e32 v139, v136, v135
	v_fma_f32 v138, v136, v134, -v138
	v_fmac_f32_e32 v139, v137, v134
	ds_write2_b64 v225, v[138:139], v[128:129] offset0:136 offset1:234
	v_mul_f32_e32 v128, v141, v125
	v_mul_f32_e32 v129, v140, v125
	v_fma_f32 v128, v140, v124, -v128
	v_fmac_f32_e32 v129, v141, v124
	v_mul_f32_e32 v124, v145, v121
	v_mul_f32_e32 v125, v144, v121
	v_fma_f32 v124, v144, v120, -v124
	v_fmac_f32_e32 v125, v145, v120
	global_load_dwordx2 v[120:121], v[130:131], off offset:1904
	ds_write2_b64 v224, v[124:125], v[122:123] offset0:92 offset1:190
	ds_write2_b64 v223, v[128:129], v[126:127] offset0:114 offset1:212
	s_waitcnt vmcnt(0)
	v_mul_f32_e32 v122, v152, v121
	v_mul_f32_e32 v123, v151, v121
	v_fma_f32 v122, v151, v120, -v122
	v_fmac_f32_e32 v123, v152, v120
	ds_write_b64 v255, v[122:123] offset:14896
	s_and_saveexec_b64 s[4:5], s[0:1]
	s_cbranch_execz .LBB0_13
; %bb.12:
	global_load_dwordx2 v[122:123], v[118:119], off offset:3584
	ds_read_b64 v[120:121], v255 offset:3584
	s_waitcnt vmcnt(0) lgkmcnt(0)
	v_mul_f32_e32 v124, v121, v123
	v_mul_f32_e32 v125, v120, v123
	v_fma_f32 v124, v120, v122, -v124
	v_fmac_f32_e32 v125, v121, v122
	v_add_co_u32_e32 v122, vcc, 0x1000, v118
	v_addc_co_u32_e32 v123, vcc, 0, v119, vcc
	global_load_dwordx2 v[122:123], v[122:123], off offset:3408
	ds_read_b64 v[120:121], v255 offset:7504
	ds_write_b64 v255, v[124:125] offset:3584
	s_waitcnt vmcnt(0) lgkmcnt(1)
	v_mul_f32_e32 v124, v121, v123
	v_mul_f32_e32 v125, v120, v123
	v_fma_f32 v124, v120, v122, -v124
	v_fmac_f32_e32 v125, v121, v122
	v_add_co_u32_e32 v122, vcc, 0x2000, v118
	v_addc_co_u32_e32 v123, vcc, 0, v119, vcc
	global_load_dwordx2 v[122:123], v[122:123], off offset:3232
	v_add_co_u32_e32 v118, vcc, 0x3000, v118
	v_addc_co_u32_e32 v119, vcc, 0, v119, vcc
	global_load_dwordx2 v[118:119], v[118:119], off offset:3056
	ds_read_b64 v[120:121], v255 offset:11424
	ds_write_b64 v255, v[124:125] offset:7504
	s_waitcnt vmcnt(1) lgkmcnt(1)
	v_mul_f32_e32 v124, v121, v123
	v_mul_f32_e32 v125, v120, v123
	v_fma_f32 v124, v120, v122, -v124
	v_fmac_f32_e32 v125, v121, v122
	ds_read_b64 v[120:121], v255 offset:15344
	ds_write_b64 v255, v[124:125] offset:11424
	s_waitcnt vmcnt(0) lgkmcnt(1)
	v_mul_f32_e32 v122, v121, v119
	v_mul_f32_e32 v123, v120, v119
	v_fma_f32 v122, v120, v118, -v122
	v_fmac_f32_e32 v123, v121, v118
	ds_write_b64 v255, v[122:123] offset:15344
.LBB0_13:
	s_or_b64 exec, exec, s[4:5]
	s_waitcnt lgkmcnt(0)
	; wave barrier
	s_waitcnt lgkmcnt(0)
	ds_read2_b64 v[170:173], v255 offset1:56
	ds_read2_b64 v[166:169], v132 offset0:106 offset1:162
	ds_read2_b64 v[178:181], v157 offset0:84 offset1:140
	;; [unrolled: 1-line block ×15, first 2 shown]
	s_and_saveexec_b64 s[4:5], s[0:1]
	s_cbranch_execz .LBB0_15
; %bb.14:
	ds_read_b64 v[218:219], v255 offset:3584
	ds_read_b64 v[116:117], v255 offset:7504
	;; [unrolled: 1-line block ×4, first 2 shown]
.LBB0_15:
	s_or_b64 exec, exec, s[4:5]
	s_waitcnt lgkmcnt(13)
	v_sub_f32_e32 v178, v170, v178
	v_sub_f32_e32 v179, v171, v179
	s_waitcnt lgkmcnt(12)
	v_sub_f32_e32 v174, v166, v174
	v_sub_f32_e32 v175, v167, v175
	v_fma_f32 v170, v170, 2.0, -v178
	v_fma_f32 v171, v171, 2.0, -v179
	;; [unrolled: 1-line block ×4, first 2 shown]
	v_sub_f32_e32 v223, v170, v166
	v_sub_f32_e32 v224, v171, v167
	v_add_f32_e32 v225, v178, v175
	v_sub_f32_e32 v226, v179, v174
	v_sub_f32_e32 v174, v172, v180
	;; [unrolled: 1-line block ×3, first 2 shown]
	v_fma_f32 v227, v170, 2.0, -v223
	v_fma_f32 v228, v171, 2.0, -v224
	;; [unrolled: 1-line block ×4, first 2 shown]
	v_sub_f32_e32 v172, v168, v176
	v_sub_f32_e32 v173, v169, v177
	s_waitcnt lgkmcnt(9)
	v_sub_f32_e32 v162, v154, v162
	v_sub_f32_e32 v163, v155, v163
	s_waitcnt lgkmcnt(8)
	v_sub_f32_e32 v158, v150, v158
	v_sub_f32_e32 v159, v151, v159
	v_fma_f32 v166, v168, 2.0, -v172
	v_fma_f32 v167, v169, 2.0, -v173
	v_add_f32_e32 v168, v174, v173
	v_sub_f32_e32 v169, v175, v172
	v_fma_f32 v154, v154, 2.0, -v162
	v_fma_f32 v155, v155, 2.0, -v163
	v_fma_f32 v150, v150, 2.0, -v158
	v_fma_f32 v151, v151, 2.0, -v159
	v_fma_f32 v172, v174, 2.0, -v168
	v_fma_f32 v173, v175, 2.0, -v169
	v_sub_f32_e32 v174, v154, v150
	v_sub_f32_e32 v175, v155, v151
	v_add_f32_e32 v176, v162, v159
	v_sub_f32_e32 v177, v163, v158
	v_sub_f32_e32 v158, v156, v164
	;; [unrolled: 1-line block ×3, first 2 shown]
	v_fma_f32 v229, v178, 2.0, -v225
	v_fma_f32 v230, v179, 2.0, -v226
	;; [unrolled: 1-line block ×6, first 2 shown]
	v_sub_f32_e32 v156, v152, v160
	v_sub_f32_e32 v157, v153, v161
	s_waitcnt lgkmcnt(5)
	v_sub_f32_e32 v146, v138, v146
	v_sub_f32_e32 v147, v139, v147
	s_waitcnt lgkmcnt(4)
	v_sub_f32_e32 v142, v134, v142
	v_sub_f32_e32 v143, v135, v143
	v_fma_f32 v150, v152, 2.0, -v156
	v_fma_f32 v151, v153, 2.0, -v157
	v_add_f32_e32 v152, v158, v157
	v_sub_f32_e32 v153, v159, v156
	v_fma_f32 v138, v138, 2.0, -v146
	v_fma_f32 v139, v139, 2.0, -v147
	;; [unrolled: 1-line block ×6, first 2 shown]
	v_sub_f32_e32 v158, v138, v134
	v_sub_f32_e32 v159, v139, v135
	v_add_f32_e32 v160, v146, v143
	v_sub_f32_e32 v161, v147, v142
	v_sub_f32_e32 v142, v140, v148
	;; [unrolled: 1-line block ×3, first 2 shown]
	v_fma_f32 v180, v162, 2.0, -v176
	v_fma_f32 v181, v163, 2.0, -v177
	;; [unrolled: 1-line block ×6, first 2 shown]
	v_sub_f32_e32 v140, v136, v144
	v_sub_f32_e32 v141, v137, v145
	s_waitcnt lgkmcnt(1)
	v_sub_f32_e32 v130, v122, v130
	s_waitcnt lgkmcnt(0)
	v_sub_f32_e32 v126, v118, v126
	v_fma_f32 v134, v136, 2.0, -v140
	v_add_f32_e32 v136, v142, v141
	v_fma_f32 v122, v122, 2.0, -v130
	v_fma_f32 v118, v118, 2.0, -v126
	v_fma_f32 v135, v137, 2.0, -v141
	v_sub_f32_e32 v137, v143, v140
	v_fma_f32 v140, v142, 2.0, -v136
	v_sub_f32_e32 v142, v122, v118
	v_sub_f32_e32 v118, v124, v132
	v_lshlrev_b32_e32 v132, 5, v222
	s_waitcnt lgkmcnt(0)
	; wave barrier
	ds_write_b128 v132, v[227:230]
	ds_write_b128 v132, v[223:226] offset:16
	buffer_load_dword v132, off, s[20:23], 0 offset:264 ; 4-byte Folded Reload
	v_sub_f32_e32 v166, v170, v166
	v_sub_f32_e32 v167, v171, v167
	v_fma_f32 v170, v170, 2.0, -v166
	v_fma_f32 v171, v171, 2.0, -v167
	s_waitcnt vmcnt(0)
	ds_write_b128 v132, v[170:173]
	ds_write_b128 v132, v[166:169] offset:16
	buffer_load_dword v132, off, s[20:23], 0 offset:268 ; 4-byte Folded Reload
	v_sub_f32_e32 v150, v154, v150
	s_waitcnt vmcnt(0)
	ds_write_b128 v132, v[178:181]
	ds_write_b128 v132, v[174:177] offset:16
	buffer_load_dword v132, off, s[20:23], 0 offset:272 ; 4-byte Folded Reload
	v_sub_f32_e32 v151, v155, v151
	v_fma_f32 v154, v154, 2.0, -v150
	v_fma_f32 v155, v155, 2.0, -v151
	s_waitcnt vmcnt(0)
	ds_write_b128 v132, v[154:157]
	ds_write_b128 v132, v[150:153] offset:16
	buffer_load_dword v132, off, s[20:23], 0 offset:276 ; 4-byte Folded Reload
	v_fma_f32 v164, v146, 2.0, -v160
	v_fma_f32 v165, v147, 2.0, -v161
	s_waitcnt vmcnt(0)
	ds_write_b128 v132, v[162:165]
	ds_write_b128 v132, v[158:161] offset:16
	buffer_load_dword v132, off, s[20:23], 0 offset:280 ; 4-byte Folded Reload
	v_sub_f32_e32 v134, v138, v134
	v_sub_f32_e32 v135, v139, v135
	v_fma_f32 v138, v138, 2.0, -v134
	v_fma_f32 v139, v139, 2.0, -v135
	v_fma_f32 v141, v143, 2.0, -v137
	s_waitcnt vmcnt(0)
	ds_write_b128 v132, v[138:141]
	ds_write_b128 v132, v[134:137] offset:16
	buffer_load_dword v132, off, s[20:23], 0 offset:284 ; 4-byte Folded Reload
	v_sub_f32_e32 v131, v123, v131
	v_sub_f32_e32 v127, v119, v127
	v_fma_f32 v123, v123, 2.0, -v131
	v_fma_f32 v119, v119, 2.0, -v127
	v_sub_f32_e32 v143, v123, v119
	v_add_f32_e32 v144, v130, v127
	v_sub_f32_e32 v145, v131, v126
	v_fma_f32 v146, v122, 2.0, -v142
	v_fma_f32 v147, v123, 2.0, -v143
	;; [unrolled: 1-line block ×4, first 2 shown]
	s_waitcnt vmcnt(0)
	ds_write_b128 v132, v[146:149]
	ds_write_b128 v132, v[142:145] offset:16
	buffer_load_dword v132, off, s[20:23], 0 offset:288 ; 4-byte Folded Reload
	v_sub_f32_e32 v119, v125, v133
	v_sub_f32_e32 v127, v120, v128
	;; [unrolled: 1-line block ×3, first 2 shown]
	v_fma_f32 v122, v124, 2.0, -v118
	v_fma_f32 v123, v125, 2.0, -v119
	;; [unrolled: 1-line block ×4, first 2 shown]
	v_sub_f32_e32 v124, v122, v120
	v_sub_f32_e32 v125, v123, v121
	v_fma_f32 v128, v122, 2.0, -v124
	v_fma_f32 v129, v123, 2.0, -v125
	v_add_f32_e32 v126, v118, v126
	v_sub_f32_e32 v127, v119, v127
	v_sub_f32_e32 v120, v218, v220
	;; [unrolled: 1-line block ×5, first 2 shown]
	v_fma_f32 v130, v118, 2.0, -v126
	v_fma_f32 v131, v119, 2.0, -v127
	v_add_f32_e32 v118, v123, v120
	v_sub_f32_e32 v119, v122, v121
	s_waitcnt vmcnt(0)
	ds_write_b128 v132, v[128:131]
	ds_write_b128 v132, v[124:127] offset:16
	s_and_saveexec_b64 s[4:5], s[0:1]
	s_cbranch_execz .LBB0_17
; %bb.16:
	v_fma_f32 v125, v122, 2.0, -v119
	v_fma_f32 v124, v120, 2.0, -v118
	v_fma_f32 v122, v219, 2.0, -v122
	v_fma_f32 v117, v117, 2.0, -v123
	v_fma_f32 v120, v218, 2.0, -v120
	v_fma_f32 v116, v116, 2.0, -v121
	v_sub_f32_e32 v117, v122, v117
	v_sub_f32_e32 v116, v120, v116
	v_fma_f32 v123, v122, 2.0, -v117
	v_fma_f32 v122, v120, 2.0, -v116
	buffer_load_dword v120, off, s[20:23], 0 offset:396 ; 4-byte Folded Reload
	s_waitcnt vmcnt(0)
	ds_write_b128 v120, v[122:125]
	ds_write_b128 v120, v[116:119] offset:16
.LBB0_17:
	s_or_b64 exec, exec, s[4:5]
	v_add_u32_e32 v124, 0x400, v255
	s_waitcnt lgkmcnt(0)
	; wave barrier
	s_waitcnt lgkmcnt(0)
	ds_read2_b64 v[120:123], v124 offset0:96 offset1:152
	v_add_u32_e32 v145, 0x1000, v255
	ds_read2_b64 v[133:136], v145 offset0:48 offset1:104
	v_add_u32_e32 v144, 0x1800, v255
	ds_read2_b64 v[137:140], v144 offset0:16 offset1:72
	v_add_u32_e32 v127, 0x2000, v255
	v_add_u32_e32 v125, 0x2800, v255
	s_waitcnt lgkmcnt(2)
	v_mul_f32_e32 v141, v9, v123
	ds_read2_b64 v[148:151], v127 offset0:96 offset1:152
	ds_read2_b64 v[152:155], v125 offset0:64 offset1:120
	v_add_u32_e32 v146, 0x3000, v255
	v_fmac_f32_e32 v141, v8, v122
	v_mul_f32_e32 v122, v9, v122
	ds_read2_b64 v[156:159], v146 offset0:144 offset1:200
	v_fma_f32 v122, v8, v123, -v122
	s_waitcnt lgkmcnt(4)
	v_mul_f32_e32 v123, v11, v134
	v_fmac_f32_e32 v123, v10, v133
	v_mul_f32_e32 v133, v11, v133
	v_fma_f32 v133, v10, v134, -v133
	s_waitcnt lgkmcnt(3)
	v_mul_f32_e32 v134, v5, v140
	v_fmac_f32_e32 v134, v4, v139
	v_mul_f32_e32 v139, v5, v139
	v_add_u32_e32 v126, 0x800, v255
	v_fma_f32 v139, v4, v140, -v139
	s_waitcnt lgkmcnt(2)
	v_mul_f32_e32 v140, v7, v149
	s_waitcnt lgkmcnt(1)
	v_mul_f32_e32 v143, v1, v155
	ds_read2_b64 v[129:132], v255 offset1:56
	ds_read2_b64 v[160:163], v126 offset0:80 offset1:136
	ds_read2_b64 v[164:167], v144 offset0:128 offset1:184
	;; [unrolled: 1-line block ×5, first 2 shown]
	v_fmac_f32_e32 v140, v6, v148
	v_mul_f32_e32 v142, v7, v148
	v_fmac_f32_e32 v143, v0, v154
	v_mul_f32_e32 v148, v1, v154
	s_waitcnt lgkmcnt(6)
	v_mul_f32_e32 v154, v3, v156
	v_fma_f32 v142, v6, v149, -v142
	v_fma_f32 v148, v0, v155, -v148
	v_mul_f32_e32 v149, v3, v157
	v_fma_f32 v154, v2, v157, -v154
	s_waitcnt lgkmcnt(4)
	v_mul_f32_e32 v155, v9, v161
	v_mul_f32_e32 v157, v11, v136
	v_fmac_f32_e32 v149, v2, v156
	v_fmac_f32_e32 v155, v8, v160
	v_mul_f32_e32 v156, v9, v160
	v_fmac_f32_e32 v157, v10, v135
	v_mul_f32_e32 v135, v11, v135
	s_waitcnt lgkmcnt(3)
	v_mul_f32_e32 v160, v5, v164
	v_add_u32_e32 v128, 0x2400, v255
	v_add_u32_e32 v147, 0x3800, v255
	v_fma_f32 v156, v8, v161, -v156
	v_fma_f32 v135, v10, v136, -v135
	v_mul_f32_e32 v136, v5, v165
	v_fma_f32 v160, v4, v165, -v160
	v_mul_f32_e32 v161, v7, v151
	v_mul_f32_e32 v165, v3, v159
	ds_read2_b64 v[216:219], v128 offset0:80 offset1:136
	ds_read2_b64 v[223:226], v147 offset1:56
	ds_read2_b64 v[227:230], v126 offset0:192 offset1:248
	v_fmac_f32_e32 v161, v6, v150
	v_mul_f32_e32 v150, v7, v150
	v_fmac_f32_e32 v165, v2, v158
	v_mul_f32_e32 v158, v3, v158
	v_fma_f32 v150, v6, v151, -v150
	s_waitcnt lgkmcnt(5)
	v_mul_f32_e32 v151, v1, v169
	v_fma_f32 v158, v2, v159, -v158
	v_mul_f32_e32 v159, v9, v163
	v_fmac_f32_e32 v136, v4, v164
	v_fmac_f32_e32 v151, v0, v168
	v_mul_f32_e32 v164, v1, v168
	v_fmac_f32_e32 v159, v8, v162
	v_mul_f32_e32 v162, v9, v162
	s_waitcnt lgkmcnt(3)
	v_mul_f32_e32 v168, v11, v176
	v_fma_f32 v162, v8, v163, -v162
	v_mul_f32_e32 v163, v11, v177
	v_fma_f32 v168, v10, v177, -v168
	v_mul_f32_e32 v177, v1, v171
	v_add_u32_e32 v116, 0x1c00, v255
	v_fma_f32 v164, v0, v169, -v164
	v_mul_f32_e32 v169, v5, v167
	v_fmac_f32_e32 v177, v0, v170
	v_mul_f32_e32 v170, v1, v170
	s_waitcnt lgkmcnt(1)
	v_mul_f32_e32 v180, v3, v223
	ds_read2_b64 v[231:234], v116 offset0:112 offset1:168
	ds_read2_b64 v[235:238], v146 offset0:32 offset1:88
	ds_read_b64 v[116:117], v255 offset:15232
	v_fmac_f32_e32 v163, v10, v176
	v_fmac_f32_e32 v169, v4, v166
	v_mul_f32_e32 v166, v5, v166
	v_mul_f32_e32 v176, v7, v216
	v_fma_f32 v170, v0, v171, -v170
	v_mul_f32_e32 v171, v3, v224
	v_fma_f32 v180, v2, v224, -v180
	;; [unrolled: 2-line block ×4, first 2 shown]
	v_mul_f32_e32 v217, v11, v179
	v_fmac_f32_e32 v224, v2, v225
	v_mul_f32_e32 v225, v3, v225
	v_fmac_f32_e32 v167, v6, v216
	s_waitcnt lgkmcnt(3)
	v_mul_f32_e32 v181, v9, v228
	v_mul_f32_e32 v216, v9, v227
	v_fmac_f32_e32 v217, v10, v178
	v_mul_f32_e32 v178, v11, v178
	v_mul_f32_e32 v221, v7, v219
	v_fma_f32 v225, v2, v226, -v225
	v_mul_f32_e32 v226, v9, v230
	v_mul_f32_e32 v9, v9, v229
	v_fmac_f32_e32 v181, v8, v227
	v_fma_f32 v178, v10, v179, -v178
	s_waitcnt lgkmcnt(2)
	v_mul_f32_e32 v179, v5, v232
	v_mul_f32_e32 v220, v5, v231
	v_fmac_f32_e32 v221, v6, v218
	v_mul_f32_e32 v218, v7, v218
	v_fma_f32 v227, v8, v230, -v9
	v_mul_f32_e32 v230, v5, v234
	v_mul_f32_e32 v5, v5, v233
	v_fmac_f32_e32 v171, v2, v223
	v_fmac_f32_e32 v179, v4, v231
	v_fma_f32 v218, v6, v219, -v218
	s_waitcnt lgkmcnt(1)
	v_mul_f32_e32 v219, v1, v236
	v_mul_f32_e32 v223, v1, v235
	v_fma_f32 v231, v4, v234, -v5
	v_mul_f32_e32 v234, v1, v238
	v_mul_f32_e32 v1, v1, v237
	v_fma_f32 v220, v4, v232, -v220
	v_fmac_f32_e32 v219, v0, v235
	v_fma_f32 v223, v0, v236, -v223
	v_fmac_f32_e32 v230, v4, v233
	v_mul_f32_e32 v4, v7, v152
	v_fmac_f32_e32 v234, v0, v237
	v_fma_f32 v235, v0, v238, -v1
	s_waitcnt lgkmcnt(0)
	v_mul_f32_e32 v236, v3, v117
	v_mul_f32_e32 v0, v3, v116
	v_fma_f32 v216, v8, v228, -v216
	v_fmac_f32_e32 v226, v8, v229
	v_mul_f32_e32 v228, v11, v138
	v_mul_f32_e32 v8, v11, v137
	;; [unrolled: 1-line block ×3, first 2 shown]
	v_fma_f32 v233, v6, v153, -v4
	v_fmac_f32_e32 v236, v2, v116
	v_fma_f32 v116, v2, v117, -v0
	v_add_f32_e32 v0, v141, v149
	v_add_f32_e32 v4, v123, v143
	v_fmac_f32_e32 v228, v10, v137
	v_fma_f32 v229, v10, v138, -v8
	v_fmac_f32_e32 v232, v6, v152
	v_add_f32_e32 v1, v122, v154
	v_add_f32_e32 v5, v133, v148
	v_sub_f32_e32 v6, v123, v143
	v_add_f32_e32 v8, v134, v140
	v_sub_f32_e32 v10, v140, v134
	;; [unrolled: 2-line block ×3, first 2 shown]
	v_sub_f32_e32 v3, v122, v154
	v_sub_f32_e32 v7, v133, v148
	v_add_f32_e32 v9, v139, v142
	v_sub_f32_e32 v11, v142, v139
	v_add_f32_e32 v122, v5, v1
	v_sub_f32_e32 v123, v4, v0
	v_sub_f32_e32 v134, v0, v8
	;; [unrolled: 1-line block ×3, first 2 shown]
	v_add_f32_e32 v0, v10, v6
	v_add_f32_e32 v8, v8, v117
	v_sub_f32_e32 v133, v5, v1
	v_sub_f32_e32 v137, v1, v9
	;; [unrolled: 1-line block ×3, first 2 shown]
	v_add_f32_e32 v1, v11, v7
	v_sub_f32_e32 v138, v10, v6
	v_sub_f32_e32 v10, v2, v10
	;; [unrolled: 1-line block ×3, first 2 shown]
	v_add_f32_e32 v9, v9, v122
	v_add_f32_e32 v2, v0, v2
	;; [unrolled: 1-line block ×3, first 2 shown]
	v_sub_f32_e32 v139, v11, v7
	v_sub_f32_e32 v11, v3, v11
	;; [unrolled: 1-line block ×3, first 2 shown]
	v_add_f32_e32 v3, v1, v3
	v_add_f32_e32 v1, v130, v9
	v_mov_b32_e32 v140, v0
	v_mul_f32_e32 v117, 0x3f4a47b2, v134
	v_mul_f32_e32 v122, 0x3f4a47b2, v137
	;; [unrolled: 1-line block ×6, first 2 shown]
	s_mov_b32 s4, 0xbf5ff5aa
	v_mul_f32_e32 v138, 0xbf5ff5aa, v6
	v_mul_f32_e32 v139, 0xbf5ff5aa, v7
	v_fmac_f32_e32 v140, 0xbf955555, v8
	v_mov_b32_e32 v8, v1
	s_mov_b32 s12, 0x3f3bfb3b
	s_mov_b32 s5, 0xbf3bfb3b
	s_mov_b32 s13, 0x3eae86e6
	v_fmac_f32_e32 v8, 0xbf955555, v9
	v_fma_f32 v9, v123, s12, -v129
	v_fma_f32 v129, v133, s12, -v130
	;; [unrolled: 1-line block ×3, first 2 shown]
	v_fmac_f32_e32 v117, 0x3d64c772, v4
	v_fma_f32 v4, v133, s5, -v122
	v_fmac_f32_e32 v122, 0x3d64c772, v5
	v_fma_f32 v130, v6, s4, -v134
	;; [unrolled: 2-line block ×4, first 2 shown]
	v_fma_f32 v10, v11, s13, -v139
	v_add_f32_e32 v117, v117, v140
	v_add_f32_e32 v139, v122, v8
	;; [unrolled: 1-line block ×6, first 2 shown]
	v_fmac_f32_e32 v134, 0xbee1c552, v2
	v_fmac_f32_e32 v137, 0xbee1c552, v3
	;; [unrolled: 1-line block ×6, first 2 shown]
	v_add_f32_e32 v2, v137, v117
	v_sub_f32_e32 v3, v139, v134
	v_add_f32_e32 v4, v10, v122
	v_sub_f32_e32 v5, v123, v138
	v_sub_f32_e32 v6, v9, v133
	v_add_f32_e32 v7, v130, v11
	v_add_f32_e32 v8, v133, v9
	v_sub_f32_e32 v9, v11, v130
	v_sub_f32_e32 v10, v122, v10
	v_add_f32_e32 v11, v138, v123
	v_sub_f32_e32 v122, v117, v137
	v_add_f32_e32 v123, v134, v139
	v_add_f32_e32 v117, v155, v165
	;; [unrolled: 1-line block ×5, first 2 shown]
	v_sub_f32_e32 v138, v157, v151
	v_add_f32_e32 v139, v136, v161
	v_add_f32_e32 v140, v160, v150
	v_sub_f32_e32 v136, v161, v136
	v_add_f32_e32 v142, v134, v117
	v_sub_f32_e32 v130, v155, v165
	v_sub_f32_e32 v141, v150, v160
	v_add_f32_e32 v143, v137, v129
	v_sub_f32_e32 v148, v134, v117
	v_sub_f32_e32 v149, v137, v129
	;; [unrolled: 1-line block ×5, first 2 shown]
	v_add_f32_e32 v129, v136, v138
	v_add_f32_e32 v139, v139, v142
	v_sub_f32_e32 v133, v156, v158
	v_sub_f32_e32 v135, v135, v164
	;; [unrolled: 1-line block ×3, first 2 shown]
	v_add_f32_e32 v140, v140, v143
	v_add_f32_e32 v142, v129, v130
	;; [unrolled: 1-line block ×4, first 2 shown]
	v_sub_f32_e32 v152, v136, v138
	v_sub_f32_e32 v153, v141, v135
	v_sub_f32_e32 v136, v130, v136
	v_sub_f32_e32 v138, v138, v130
	v_sub_f32_e32 v135, v135, v133
	v_add_f32_e32 v130, v132, v140
	v_mov_b32_e32 v154, v129
	v_sub_f32_e32 v141, v133, v141
	v_add_f32_e32 v133, v151, v133
	v_mul_f32_e32 v117, 0x3f4a47b2, v117
	v_mul_f32_e32 v131, 0x3f4a47b2, v150
	;; [unrolled: 1-line block ×6, first 2 shown]
	v_fmac_f32_e32 v154, 0xbf955555, v139
	v_mov_b32_e32 v139, v130
	v_mul_f32_e32 v132, 0x3d64c772, v134
	v_mul_f32_e32 v152, 0xbf5ff5aa, v138
	v_fmac_f32_e32 v139, 0xbf955555, v140
	v_fma_f32 v140, v149, s12, -v143
	v_fma_f32 v143, v148, s5, -v117
	v_fmac_f32_e32 v117, 0x3d64c772, v134
	v_fma_f32 v134, v149, s5, -v131
	v_fmac_f32_e32 v131, 0x3d64c772, v137
	;; [unrolled: 2-line block ×4, first 2 shown]
	v_fma_f32 v141, v141, s13, -v153
	v_fma_f32 v132, v148, s12, -v132
	;; [unrolled: 1-line block ×3, first 2 shown]
	v_add_f32_e32 v117, v117, v154
	v_add_f32_e32 v149, v131, v139
	;; [unrolled: 1-line block ×3, first 2 shown]
	v_fmac_f32_e32 v150, 0xbee1c552, v142
	v_fmac_f32_e32 v151, 0xbee1c552, v133
	;; [unrolled: 1-line block ×3, first 2 shown]
	v_add_f32_e32 v152, v132, v154
	v_add_f32_e32 v140, v140, v139
	;; [unrolled: 1-line block ×3, first 2 shown]
	v_fmac_f32_e32 v138, 0xbee1c552, v142
	v_fmac_f32_e32 v137, 0xbee1c552, v133
	;; [unrolled: 1-line block ×3, first 2 shown]
	v_add_f32_e32 v131, v151, v117
	v_sub_f32_e32 v132, v149, v150
	v_add_f32_e32 v133, v141, v143
	v_sub_f32_e32 v139, v143, v141
	v_sub_f32_e32 v141, v117, v151
	v_add_f32_e32 v142, v150, v149
	v_add_f32_e32 v117, v159, v171
	;; [unrolled: 1-line block ×3, first 2 shown]
	v_sub_f32_e32 v135, v152, v137
	v_add_f32_e32 v137, v137, v152
	v_add_f32_e32 v143, v162, v180
	;; [unrolled: 1-line block ×3, first 2 shown]
	v_sub_f32_e32 v152, v163, v177
	v_add_f32_e32 v154, v169, v167
	v_sub_f32_e32 v156, v167, v169
	v_add_f32_e32 v158, v150, v117
	;; [unrolled: 2-line block ×4, first 2 shown]
	v_sub_f32_e32 v148, v159, v171
	v_sub_f32_e32 v149, v162, v180
	;; [unrolled: 1-line block ×3, first 2 shown]
	v_add_f32_e32 v155, v166, v176
	v_sub_f32_e32 v157, v176, v166
	v_add_f32_e32 v159, v151, v143
	v_sub_f32_e32 v160, v150, v117
	v_sub_f32_e32 v117, v117, v154
	;; [unrolled: 1-line block ×3, first 2 shown]
	v_add_f32_e32 v162, v156, v152
	v_add_f32_e32 v154, v154, v158
	v_sub_f32_e32 v161, v151, v143
	v_sub_f32_e32 v143, v143, v155
	;; [unrolled: 1-line block ×3, first 2 shown]
	v_add_f32_e32 v163, v157, v153
	v_sub_f32_e32 v164, v156, v152
	v_sub_f32_e32 v156, v148, v156
	;; [unrolled: 1-line block ×3, first 2 shown]
	v_add_f32_e32 v155, v155, v159
	v_add_f32_e32 v158, v162, v148
	;; [unrolled: 1-line block ×3, first 2 shown]
	v_sub_f32_e32 v165, v157, v153
	v_sub_f32_e32 v157, v149, v157
	v_sub_f32_e32 v153, v153, v149
	v_add_f32_e32 v159, v163, v149
	v_add_f32_e32 v149, v173, v155
	v_mov_b32_e32 v168, v148
	v_mul_f32_e32 v117, 0x3f4a47b2, v117
	v_mul_f32_e32 v143, 0x3f4a47b2, v143
	;; [unrolled: 1-line block ×7, first 2 shown]
	v_fmac_f32_e32 v168, 0xbf955555, v154
	v_mov_b32_e32 v154, v149
	v_mul_f32_e32 v166, 0xbf5ff5aa, v152
	v_fmac_f32_e32 v154, 0xbf955555, v155
	v_fma_f32 v155, v160, s12, -v162
	v_fma_f32 v162, v161, s12, -v163
	;; [unrolled: 1-line block ×3, first 2 shown]
	v_fmac_f32_e32 v117, 0x3d64c772, v150
	v_fma_f32 v150, v161, s5, -v143
	v_fmac_f32_e32 v143, 0x3d64c772, v151
	v_fma_f32 v161, v152, s4, -v164
	;; [unrolled: 2-line block ×4, first 2 shown]
	v_fma_f32 v166, v156, s13, -v166
	v_add_f32_e32 v117, v117, v168
	v_add_f32_e32 v143, v143, v154
	;; [unrolled: 1-line block ×4, first 2 shown]
	v_fmac_f32_e32 v164, 0xbee1c552, v158
	v_fmac_f32_e32 v165, 0xbee1c552, v159
	;; [unrolled: 1-line block ×4, first 2 shown]
	v_add_f32_e32 v156, v155, v168
	v_add_f32_e32 v162, v150, v154
	v_fmac_f32_e32 v166, 0xbee1c552, v158
	v_add_f32_e32 v150, v165, v117
	v_sub_f32_e32 v151, v143, v164
	v_add_f32_e32 v152, v167, v160
	v_add_f32_e32 v155, v161, v157
	v_sub_f32_e32 v157, v157, v161
	v_sub_f32_e32 v158, v160, v167
	;; [unrolled: 1-line block ×3, first 2 shown]
	v_add_f32_e32 v161, v164, v143
	v_add_f32_e32 v117, v181, v224
	;; [unrolled: 1-line block ×3, first 2 shown]
	v_fmac_f32_e32 v163, 0xbee1c552, v159
	v_sub_f32_e32 v153, v162, v166
	v_add_f32_e32 v159, v166, v162
	v_add_f32_e32 v143, v216, v225
	v_add_f32_e32 v165, v178, v223
	v_sub_f32_e32 v166, v217, v219
	v_add_f32_e32 v168, v179, v221
	v_sub_f32_e32 v170, v221, v179
	v_add_f32_e32 v172, v164, v117
	v_sub_f32_e32 v162, v181, v224
	v_sub_f32_e32 v167, v178, v223
	v_add_f32_e32 v169, v220, v218
	v_sub_f32_e32 v171, v218, v220
	v_add_f32_e32 v173, v165, v143
	v_sub_f32_e32 v176, v164, v117
	v_sub_f32_e32 v117, v117, v168
	;; [unrolled: 1-line block ×3, first 2 shown]
	v_add_f32_e32 v178, v170, v166
	v_add_f32_e32 v168, v168, v172
	v_sub_f32_e32 v154, v156, v163
	v_add_f32_e32 v156, v163, v156
	v_sub_f32_e32 v163, v216, v225
	v_sub_f32_e32 v177, v165, v143
	;; [unrolled: 1-line block ×4, first 2 shown]
	v_add_f32_e32 v179, v171, v167
	v_sub_f32_e32 v180, v170, v166
	v_sub_f32_e32 v170, v162, v170
	;; [unrolled: 1-line block ×3, first 2 shown]
	v_add_f32_e32 v169, v169, v173
	v_add_f32_e32 v172, v178, v162
	;; [unrolled: 1-line block ×3, first 2 shown]
	v_sub_f32_e32 v181, v171, v167
	v_sub_f32_e32 v171, v163, v171
	;; [unrolled: 1-line block ×3, first 2 shown]
	v_add_f32_e32 v173, v179, v163
	v_add_f32_e32 v163, v175, v169
	v_mov_b32_e32 v216, v162
	v_mul_f32_e32 v117, 0x3f4a47b2, v117
	v_mul_f32_e32 v143, 0x3f4a47b2, v143
	;; [unrolled: 1-line block ×6, first 2 shown]
	v_fmac_f32_e32 v216, 0xbf955555, v168
	v_mov_b32_e32 v168, v163
	v_mul_f32_e32 v178, 0x3f08b237, v180
	v_mul_f32_e32 v180, 0xbf5ff5aa, v166
	v_fmac_f32_e32 v168, 0xbf955555, v169
	v_fma_f32 v169, v176, s12, -v174
	v_fma_f32 v174, v177, s12, -v175
	;; [unrolled: 1-line block ×3, first 2 shown]
	v_fmac_f32_e32 v117, 0x3d64c772, v164
	v_fma_f32 v164, v177, s5, -v143
	v_fma_f32 v177, v167, s4, -v179
	v_fmac_f32_e32 v179, 0xbeae86e6, v171
	v_fma_f32 v181, v171, s13, -v181
	v_fmac_f32_e32 v143, 0x3d64c772, v165
	;; [unrolled: 2-line block ×3, first 2 shown]
	v_fma_f32 v180, v170, s13, -v180
	v_add_f32_e32 v117, v117, v216
	v_add_f32_e32 v170, v169, v216
	;; [unrolled: 1-line block ×4, first 2 shown]
	v_fmac_f32_e32 v179, 0xbee1c552, v173
	v_fmac_f32_e32 v177, 0xbee1c552, v173
	;; [unrolled: 1-line block ×3, first 2 shown]
	v_add_f32_e32 v143, v143, v168
	v_add_f32_e32 v175, v164, v168
	v_fmac_f32_e32 v178, 0xbee1c552, v172
	v_fmac_f32_e32 v176, 0xbee1c552, v172
	;; [unrolled: 1-line block ×3, first 2 shown]
	v_add_f32_e32 v164, v179, v117
	v_add_f32_e32 v166, v181, v174
	v_sub_f32_e32 v168, v170, v177
	v_add_f32_e32 v170, v177, v170
	v_sub_f32_e32 v172, v174, v181
	v_sub_f32_e32 v174, v117, v179
	v_add_f32_e32 v117, v226, v236
	v_add_f32_e32 v177, v228, v234
	v_sub_f32_e32 v165, v143, v178
	v_sub_f32_e32 v167, v175, v180
	v_add_f32_e32 v173, v180, v175
	v_add_f32_e32 v175, v178, v143
	;; [unrolled: 1-line block ×8, first 2 shown]
	v_sub_f32_e32 v221, v177, v117
	v_sub_f32_e32 v117, v117, v181
	;; [unrolled: 1-line block ×3, first 2 shown]
	v_add_f32_e32 v181, v181, v219
	v_sub_f32_e32 v179, v228, v234
	v_sub_f32_e32 v180, v229, v235
	;; [unrolled: 1-line block ×7, first 2 shown]
	v_add_f32_e32 v216, v216, v220
	v_add_f32_e32 v120, v120, v181
	;; [unrolled: 1-line block ×3, first 2 shown]
	v_sub_f32_e32 v171, v171, v176
	v_sub_f32_e32 v176, v226, v236
	;; [unrolled: 1-line block ×3, first 2 shown]
	v_add_f32_e32 v224, v217, v179
	v_add_f32_e32 v225, v218, v180
	v_sub_f32_e32 v226, v217, v179
	v_sub_f32_e32 v227, v218, v180
	v_add_f32_e32 v121, v121, v216
	v_mov_b32_e32 v228, v120
	v_sub_f32_e32 v217, v176, v217
	v_sub_f32_e32 v218, v116, v218
	;; [unrolled: 1-line block ×4, first 2 shown]
	v_add_f32_e32 v176, v224, v176
	v_add_f32_e32 v116, v225, v116
	v_mul_f32_e32 v117, 0x3f4a47b2, v117
	v_mul_f32_e32 v143, 0x3f4a47b2, v143
	;; [unrolled: 1-line block ×6, first 2 shown]
	v_fmac_f32_e32 v228, 0xbf955555, v181
	v_mov_b32_e32 v181, v121
	v_mul_f32_e32 v226, 0xbf5ff5aa, v179
	v_mul_f32_e32 v227, 0xbf5ff5aa, v180
	v_fmac_f32_e32 v181, 0xbf955555, v216
	v_fma_f32 v216, v221, s12, -v219
	v_fma_f32 v219, v223, s12, -v220
	;; [unrolled: 1-line block ×3, first 2 shown]
	v_fmac_f32_e32 v117, 0x3d64c772, v177
	v_fma_f32 v177, v223, s5, -v143
	v_fmac_f32_e32 v143, 0x3d64c772, v178
	v_fma_f32 v221, v179, s4, -v224
	;; [unrolled: 2-line block ×4, first 2 shown]
	v_fma_f32 v218, v218, s13, -v227
	v_add_f32_e32 v117, v117, v228
	v_add_f32_e32 v143, v143, v181
	v_fmac_f32_e32 v224, 0xbee1c552, v176
	v_fmac_f32_e32 v225, 0xbee1c552, v116
	v_add_f32_e32 v217, v219, v181
	v_add_f32_e32 v219, v220, v228
	;; [unrolled: 1-line block ×3, first 2 shown]
	v_fmac_f32_e32 v221, 0xbee1c552, v176
	v_fmac_f32_e32 v223, 0xbee1c552, v116
	v_fmac_f32_e32 v226, 0xbee1c552, v176
	v_fmac_f32_e32 v218, 0xbee1c552, v116
	v_add_f32_e32 v176, v225, v117
	v_sub_f32_e32 v177, v143, v224
	v_sub_f32_e32 v116, v117, v225
	v_add_f32_e32 v117, v224, v143
	s_waitcnt lgkmcnt(0)
	; wave barrier
	buffer_load_dword v143, off, s[20:23], 0 offset:292 ; 4-byte Folded Reload
	s_waitcnt vmcnt(0)
	ds_write2_b64 v143, v[0:1], v[2:3] offset1:4
	ds_write2_b64 v143, v[4:5], v[6:7] offset0:8 offset1:12
	ds_write2_b64 v143, v[8:9], v[10:11] offset0:16 offset1:20
	ds_write_b64 v143, v[122:123] offset:192
	buffer_load_dword v0, off, s[20:23], 0 offset:296 ; 4-byte Folded Reload
	s_waitcnt vmcnt(0)
	ds_write2_b64 v0, v[129:130], v[131:132] offset1:4
	ds_write2_b64 v0, v[133:134], v[135:136] offset0:8 offset1:12
	ds_write2_b64 v0, v[137:138], v[139:140] offset0:16 offset1:20
	ds_write_b64 v0, v[141:142] offset:192
	;; [unrolled: 6-line block ×4, first 2 shown]
	buffer_load_dword v0, off, s[20:23], 0 offset:308 ; 4-byte Folded Reload
	v_add_f32_e32 v216, v216, v228
	v_add_f32_e32 v178, v218, v219
	v_sub_f32_e32 v179, v220, v226
	v_sub_f32_e32 v180, v216, v223
	v_add_f32_e32 v181, v221, v217
	v_add_f32_e32 v216, v223, v216
	v_sub_f32_e32 v217, v217, v221
	v_sub_f32_e32 v218, v219, v218
	v_add_f32_e32 v219, v226, v220
	s_waitcnt vmcnt(0)
	ds_write2_b64 v0, v[120:121], v[176:177] offset1:4
	ds_write2_b64 v0, v[178:179], v[180:181] offset0:8 offset1:12
	ds_write2_b64 v0, v[216:217], v[218:219] offset0:16 offset1:20
	ds_write_b64 v0, v[116:117] offset:192
	s_waitcnt lgkmcnt(0)
	; wave barrier
	s_waitcnt lgkmcnt(0)
	ds_read2_b64 v[136:139], v255 offset1:56
	ds_read2_b64 v[0:3], v144 offset0:128 offset1:212
	ds_read2_b64 v[172:175], v127 offset0:12 offset1:68
	;; [unrolled: 1-line block ×9, first 2 shown]
	v_add_u32_e32 v4, 0x2c00, v255
	ds_read2_b64 v[156:159], v4 offset0:76 offset1:132
	ds_read2_b64 v[120:123], v145 offset0:48 offset1:104
	;; [unrolled: 1-line block ×7, first 2 shown]
	s_and_saveexec_b64 s[4:5], s[2:3]
	s_cbranch_execz .LBB0_19
; %bb.18:
	ds_read_b64 v[116:117], v255 offset:7616
	ds_read_b64 v[118:119], v255 offset:15456
.LBB0_19:
	s_or_b64 exec, exec, s[4:5]
	s_waitcnt lgkmcnt(14)
	v_mul_f32_e32 v176, v189, v3
	v_fmac_f32_e32 v176, v188, v2
	v_mul_f32_e32 v2, v189, v2
	v_fma_f32 v3, v188, v3, -v2
	v_mul_f32_e32 v177, v187, v173
	v_mul_f32_e32 v2, v187, v172
	v_fmac_f32_e32 v177, v186, v172
	v_fma_f32 v172, v186, v173, -v2
	v_mul_f32_e32 v173, v183, v175
	v_mul_f32_e32 v2, v183, v174
	v_fmac_f32_e32 v173, v182, v174
	v_fma_f32 v174, v182, v175, -v2
	s_waitcnt lgkmcnt(12)
	v_mul_f32_e32 v175, v254, v169
	v_mul_f32_e32 v2, v254, v168
	v_fmac_f32_e32 v175, v253, v168
	v_fma_f32 v168, v253, v169, -v2
	v_mul_f32_e32 v169, v197, v171
	v_mul_f32_e32 v2, v197, v170
	v_fmac_f32_e32 v169, v196, v170
	v_fma_f32 v170, v196, v171, -v2
	s_waitcnt lgkmcnt(10)
	;; [unrolled: 9-line block ×4, first 2 shown]
	v_mul_f32_e32 v2, v203, v156
	v_fma_f32 v178, v202, v157, -v2
	v_mul_f32_e32 v2, v201, v158
	v_fma_f32 v180, v200, v159, -v2
	s_waitcnt lgkmcnt(4)
	v_mul_f32_e32 v2, v199, v152
	v_fma_f32 v182, v198, v153, -v2
	v_mul_f32_e32 v2, v213, v154
	v_fma_f32 v186, v212, v155, -v2
	s_waitcnt lgkmcnt(2)
	;; [unrolled: 5-line block ×3, first 2 shown]
	v_mul_f32_e32 v2, v207, v144
	v_fma_f32 v192, v206, v145, -v2
	v_mul_f32_e32 v2, v215, v146
	v_fma_f32 v194, v214, v147, -v2
	v_sub_f32_e32 v2, v136, v176
	s_waitcnt lgkmcnt(0)
	; wave barrier
	buffer_load_dword v176, off, s[20:23], 0 offset:316 ; 4-byte Folded Reload
	v_sub_f32_e32 v3, v137, v3
	v_fma_f32 v136, v136, 2.0, -v2
	v_fma_f32 v137, v137, 2.0, -v3
	v_mul_f32_e32 v191, v207, v145
	v_fmac_f32_e32 v191, v206, v144
	v_sub_f32_e32 v144, v138, v177
	v_sub_f32_e32 v145, v139, v172
	v_fma_f32 v138, v138, 2.0, -v144
	v_fma_f32 v139, v139, 2.0, -v145
	v_mul_f32_e32 v193, v215, v147
	v_fmac_f32_e32 v193, v214, v146
	v_sub_f32_e32 v146, v140, v173
	;; [unrolled: 6-line block ×8, first 2 shown]
	v_sub_f32_e32 v159, v125, v162
	v_fma_f32 v124, v124, 2.0, -v158
	v_fma_f32 v125, v125, 2.0, -v159
	v_sub_f32_e32 v160, v126, v163
	v_sub_f32_e32 v161, v127, v178
	v_fma_f32 v126, v126, 2.0, -v160
	v_fma_f32 v127, v127, 2.0, -v161
	v_sub_f32_e32 v162, v120, v179
	;; [unrolled: 4-line block ×7, first 2 shown]
	v_sub_f32_e32 v173, v7, v192
	v_fma_f32 v6, v6, 2.0, -v172
	v_fma_f32 v7, v7, 2.0, -v173
	s_waitcnt vmcnt(0)
	ds_write2_b64 v176, v[136:137], v[2:3] offset1:28
	buffer_load_dword v2, off, s[20:23], 0 offset:320 ; 4-byte Folded Reload
	v_sub_f32_e32 v174, v0, v193
	v_sub_f32_e32 v175, v1, v194
	v_fma_f32 v0, v0, 2.0, -v174
	v_fma_f32 v1, v1, 2.0, -v175
	s_waitcnt vmcnt(0)
	ds_write2_b64 v2, v[138:139], v[144:145] offset1:28
	buffer_load_dword v2, off, s[20:23], 0 offset:324 ; 4-byte Folded Reload
	s_waitcnt vmcnt(0)
	ds_write2_b64 v2, v[140:141], v[146:147] offset1:28
	buffer_load_dword v2, off, s[20:23], 0 offset:328 ; 4-byte Folded Reload
	s_waitcnt vmcnt(0)
	ds_write2_b64 v2, v[142:143], v[148:149] offset1:28
	buffer_load_dword v2, off, s[20:23], 0 offset:332 ; 4-byte Folded Reload
	s_waitcnt vmcnt(0)
	ds_write2_b64 v2, v[132:133], v[150:151] offset1:28
	buffer_load_dword v2, off, s[20:23], 0 offset:336 ; 4-byte Folded Reload
	s_waitcnt vmcnt(0)
	ds_write2_b64 v2, v[134:135], v[152:153] offset1:28
	buffer_load_dword v2, off, s[20:23], 0 offset:340 ; 4-byte Folded Reload
	s_waitcnt vmcnt(0)
	ds_write2_b64 v2, v[128:129], v[154:155] offset1:28
	buffer_load_dword v2, off, s[20:23], 0 offset:344 ; 4-byte Folded Reload
	s_waitcnt vmcnt(0)
	ds_write2_b64 v2, v[130:131], v[156:157] offset1:28
	buffer_load_dword v2, off, s[20:23], 0 offset:348 ; 4-byte Folded Reload
	s_waitcnt vmcnt(0)
	ds_write2_b64 v2, v[124:125], v[158:159] offset1:28
	buffer_load_dword v2, off, s[20:23], 0 offset:352 ; 4-byte Folded Reload
	s_waitcnt vmcnt(0)
	ds_write2_b64 v2, v[126:127], v[160:161] offset1:28
	buffer_load_dword v2, off, s[20:23], 0 offset:356 ; 4-byte Folded Reload
	s_waitcnt vmcnt(0)
	ds_write2_b64 v2, v[120:121], v[162:163] offset1:28
	buffer_load_dword v2, off, s[20:23], 0 offset:360 ; 4-byte Folded Reload
	s_waitcnt vmcnt(0)
	ds_write2_b64 v2, v[122:123], v[164:165] offset1:28
	buffer_load_dword v2, off, s[20:23], 0 offset:364 ; 4-byte Folded Reload
	s_waitcnt vmcnt(0)
	ds_write2_b64 v2, v[8:9], v[166:167] offset1:28
	buffer_load_dword v2, off, s[20:23], 0 offset:368 ; 4-byte Folded Reload
	s_waitcnt vmcnt(0)
	ds_write2_b64 v2, v[10:11], v[168:169] offset1:28
	buffer_load_dword v2, off, s[20:23], 0 offset:372 ; 4-byte Folded Reload
	s_waitcnt vmcnt(0)
	ds_write2_b64 v2, v[4:5], v[170:171] offset1:28
	buffer_load_dword v2, off, s[20:23], 0 offset:376 ; 4-byte Folded Reload
	s_waitcnt vmcnt(0)
	ds_write2_b64 v2, v[6:7], v[172:173] offset1:28
	buffer_load_dword v2, off, s[20:23], 0 offset:380 ; 4-byte Folded Reload
	s_waitcnt vmcnt(0)
	ds_write2_b64 v2, v[0:1], v[174:175] offset1:28
	s_and_saveexec_b64 s[4:5], s[2:3]
	s_cbranch_execz .LBB0_21
; %bb.20:
	buffer_load_dword v4, off, s[20:23], 0 offset:312 ; 4-byte Folded Reload
	v_mul_f32_e32 v0, v252, v118
	v_fma_f32 v0, v251, v119, -v0
	v_sub_f32_e32 v1, v117, v0
	v_mul_f32_e32 v0, v252, v119
	v_fmac_f32_e32 v0, v251, v118
	v_sub_f32_e32 v0, v116, v0
	v_fma_f32 v3, v117, 2.0, -v1
	v_fma_f32 v2, v116, 2.0, -v0
	s_waitcnt vmcnt(0)
	v_add_u32_e32 v4, 0x3800, v4
	ds_write2_b64 v4, v[2:3], v[0:1] offset0:112 offset1:140
.LBB0_21:
	s_or_b64 exec, exec, s[4:5]
	v_mad_u64_u32 v[116:117], s[2:3], s10, v250, 0
	v_add_u32_e32 v124, 0x400, v255
	v_add_u32_e32 v125, 0x1000, v255
	v_mov_b32_e32 v0, v117
	s_waitcnt lgkmcnt(0)
	; wave barrier
	v_mad_u64_u32 v[117:118], s[2:3], s11, v250, v[0:1]
	s_waitcnt lgkmcnt(0)
	ds_read2_b64 v[0:3], v124 offset0:96 offset1:152
	ds_read2_b64 v[131:134], v125 offset0:48 offset1:104
	v_add_u32_e32 v123, 0x2000, v255
	ds_read2_b64 v[139:142], v123 offset0:96 offset1:152
	v_add_u32_e32 v120, 0x1800, v255
	;; [unrolled: 2-line block ×3, first 2 shown]
	v_add_u32_e32 v122, 0x3000, v255
	v_add_u32_e32 v121, 0x800, v255
	s_waitcnt lgkmcnt(3)
	v_mul_f32_e32 v179, v21, v3
	s_waitcnt lgkmcnt(2)
	v_mul_f32_e32 v180, v23, v132
	v_mul_f32_e32 v9, v23, v131
	ds_read2_b64 v[127:130], v255 offset1:56
	ds_read2_b64 v[143:146], v118 offset0:64 offset1:120
	ds_read2_b64 v[147:150], v122 offset0:144 offset1:200
	ds_read2_b64 v[151:154], v121 offset0:80 offset1:136
	ds_read2_b64 v[155:158], v120 offset0:128 offset1:184
	ds_read2_b64 v[159:162], v118 offset0:176 offset1:232
	ds_read2_b64 v[4:7], v255 offset0:112 offset1:168
	ds_read2_b64 v[163:166], v125 offset0:160 offset1:216
	v_fmac_f32_e32 v179, v20, v2
	v_fmac_f32_e32 v180, v22, v131
	v_fma_f32 v131, v22, v132, -v9
	v_mul_f32_e32 v132, v23, v134
	v_mul_f32_e32 v9, v23, v133
	;; [unrolled: 1-line block ×3, first 2 shown]
	v_fmac_f32_e32 v132, v22, v133
	v_fma_f32 v22, v22, v134, -v9
	v_fma_f32 v23, v20, v3, -v2
	s_waitcnt lgkmcnt(4)
	v_mul_f32_e32 v134, v21, v152
	v_mul_f32_e32 v2, v21, v151
	v_fmac_f32_e32 v134, v20, v151
	v_fma_f32 v21, v20, v152, -v2
	v_mul_f32_e32 v20, v19, v140
	v_mul_f32_e32 v2, v19, v139
	v_fmac_f32_e32 v20, v18, v139
	v_fma_f32 v139, v18, v140, -v2
	;; [unrolled: 4-line block ×3, first 2 shown]
	v_mul_f32_e32 v2, v17, v137
	v_fma_f32 v18, v16, v138, -v2
	s_waitcnt lgkmcnt(3)
	v_mul_f32_e32 v2, v17, v155
	v_mul_f32_e32 v133, v17, v138
	v_fma_f32 v138, v16, v156, -v2
	v_mul_f32_e32 v2, v15, v147
	v_fma_f32 v142, v14, v148, -v2
	v_mul_f32_e32 v2, v15, v149
	v_fmac_f32_e32 v133, v16, v137
	v_mul_f32_e32 v19, v13, v146
	v_mul_f32_e32 v137, v17, v156
	v_mul_f32_e32 v17, v15, v148
	v_fma_f32 v148, v14, v150, -v2
	v_mul_f32_e32 v2, v13, v145
	v_add_u32_e32 v8, 0x2400, v255
	v_add_u32_e32 v119, 0x3800, v255
	v_add_u32_e32 v126, 0x1c00, v255
	v_fmac_f32_e32 v19, v12, v145
	v_fmac_f32_e32 v17, v14, v147
	v_mul_f32_e32 v147, v15, v150
	v_fma_f32 v145, v12, v146, -v2
	s_waitcnt lgkmcnt(2)
	v_mul_f32_e32 v146, v13, v160
	v_mul_f32_e32 v2, v13, v159
	ds_read2_b64 v[167:170], v8 offset0:80 offset1:136
	ds_read2_b64 v[171:174], v119 offset1:56
	ds_read2_b64 v[175:178], v121 offset0:192 offset1:248
	v_fmac_f32_e32 v147, v14, v149
	v_fmac_f32_e32 v146, v12, v159
	v_fma_f32 v149, v12, v160, -v2
	ds_read2_b64 v[9:12], v126 offset0:112 offset1:168
	v_mul_f32_e32 v150, v33, v154
	v_mul_f32_e32 v2, v33, v153
	v_fmac_f32_e32 v137, v16, v155
	v_fmac_f32_e32 v150, v32, v153
	v_fma_f32 v151, v32, v154, -v2
	s_waitcnt lgkmcnt(4)
	v_mul_f32_e32 v2, v35, v163
	v_mul_f32_e32 v153, v29, v158
	ds_read2_b64 v[13:16], v122 offset0:32 offset1:88
	v_mul_f32_e32 v152, v35, v164
	v_fma_f32 v35, v34, v164, -v2
	v_fmac_f32_e32 v153, v28, v157
	v_mul_f32_e32 v2, v29, v157
	v_mul_f32_e32 v157, v25, v162
	;; [unrolled: 1-line block ×3, first 2 shown]
	v_fma_f32 v154, v28, v158, -v2
	v_fmac_f32_e32 v157, v24, v161
	v_fma_f32 v158, v24, v162, -v25
	s_waitcnt lgkmcnt(3)
	v_mul_f32_e32 v24, v27, v171
	s_waitcnt lgkmcnt(1)
	v_mul_f32_e32 v164, v41, v10
	v_fmac_f32_e32 v152, v34, v163
	v_mul_f32_e32 v2, v31, v167
	v_fma_f32 v160, v26, v172, -v24
	v_mul_f32_e32 v24, v45, v175
	v_mul_f32_e32 v163, v47, v166
	v_fmac_f32_e32 v164, v40, v9
	v_mul_f32_e32 v9, v41, v9
	v_mul_f32_e32 v155, v31, v168
	v_fma_f32 v156, v30, v168, -v2
	ds_read_b64 v[2:3], v255 offset:15232
	v_fma_f32 v162, v44, v176, -v24
	v_fmac_f32_e32 v163, v46, v165
	v_mul_f32_e32 v24, v47, v165
	v_fma_f32 v165, v40, v10, -v9
	v_mul_f32_e32 v9, v43, v169
	v_fmac_f32_e32 v155, v30, v167
	v_fma_f32 v47, v46, v166, -v24
	v_mul_f32_e32 v166, v43, v170
	v_fma_f32 v167, v42, v170, -v9
	s_waitcnt lgkmcnt(1)
	v_mul_f32_e32 v9, v37, v13
	v_mul_f32_e32 v159, v27, v172
	v_fmac_f32_e32 v166, v42, v169
	v_fma_f32 v169, v36, v14, -v9
	v_mul_f32_e32 v9, v39, v173
	v_fmac_f32_e32 v159, v26, v171
	v_mul_f32_e32 v170, v39, v174
	v_fma_f32 v171, v38, v174, -v9
	v_mul_f32_e32 v9, v57, v177
	v_fmac_f32_e32 v170, v38, v173
	v_mul_f32_e32 v172, v57, v178
	v_fma_f32 v173, v56, v178, -v9
	v_mul_f32_e32 v9, v59, v135
	v_mul_f32_e32 v161, v45, v176
	v_fmac_f32_e32 v172, v56, v177
	v_mul_f32_e32 v174, v59, v136
	v_fma_f32 v59, v58, v136, -v9
	v_mul_f32_e32 v9, v53, v11
	s_waitcnt lgkmcnt(0)
	v_mul_f32_e32 v177, v51, v3
	v_fmac_f32_e32 v161, v44, v175
	v_fmac_f32_e32 v174, v58, v135
	v_mul_f32_e32 v135, v53, v12
	v_fma_f32 v136, v52, v12, -v9
	v_mul_f32_e32 v175, v55, v144
	v_mul_f32_e32 v9, v55, v143
	v_fmac_f32_e32 v177, v50, v2
	v_mul_f32_e32 v2, v51, v2
	v_mul_f32_e32 v168, v37, v14
	v_fmac_f32_e32 v135, v52, v11
	v_fmac_f32_e32 v175, v54, v143
	v_fma_f32 v143, v54, v144, -v9
	v_mul_f32_e32 v144, v49, v16
	v_mul_f32_e32 v9, v49, v15
	v_fma_f32 v178, v50, v3, -v2
	v_add_f32_e32 v2, v179, v17
	v_add_f32_e32 v11, v180, v19
	v_fmac_f32_e32 v168, v36, v13
	v_fmac_f32_e32 v144, v48, v15
	v_fma_f32 v176, v48, v16, -v9
	v_add_f32_e32 v3, v23, v142
	v_sub_f32_e32 v9, v179, v17
	v_add_f32_e32 v12, v131, v145
	v_sub_f32_e32 v13, v180, v19
	;; [unrolled: 2-line block ×4, first 2 shown]
	v_sub_f32_e32 v14, v131, v145
	v_add_f32_e32 v16, v18, v139
	v_sub_f32_e32 v18, v139, v18
	v_add_f32_e32 v20, v12, v3
	v_sub_f32_e32 v23, v11, v2
	v_sub_f32_e32 v25, v2, v15
	;; [unrolled: 1-line block ×3, first 2 shown]
	v_add_f32_e32 v2, v17, v13
	v_add_f32_e32 v15, v15, v19
	v_sub_f32_e32 v24, v12, v3
	v_sub_f32_e32 v26, v3, v16
	v_sub_f32_e32 v12, v16, v12
	v_add_f32_e32 v3, v18, v14
	v_sub_f32_e32 v27, v17, v13
	v_sub_f32_e32 v17, v9, v17
	;; [unrolled: 1-line block ×3, first 2 shown]
	v_add_f32_e32 v16, v16, v20
	v_add_f32_e32 v9, v2, v9
	;; [unrolled: 1-line block ×3, first 2 shown]
	v_sub_f32_e32 v28, v18, v14
	v_sub_f32_e32 v18, v10, v18
	;; [unrolled: 1-line block ×3, first 2 shown]
	v_add_f32_e32 v10, v3, v10
	v_add_f32_e32 v3, v128, v16
	v_mov_b32_e32 v31, v2
	v_mul_f32_e32 v19, 0x3f4a47b2, v25
	v_mul_f32_e32 v20, 0x3f4a47b2, v26
	;; [unrolled: 1-line block ×6, first 2 shown]
	s_mov_b32 s2, 0xbf5ff5aa
	v_mul_f32_e32 v29, 0xbf5ff5aa, v13
	v_mul_f32_e32 v30, 0xbf5ff5aa, v14
	v_fmac_f32_e32 v31, 0xbf955555, v15
	v_mov_b32_e32 v15, v3
	s_mov_b32 s4, 0x3f3bfb3b
	s_mov_b32 s3, 0xbf3bfb3b
	;; [unrolled: 1-line block ×3, first 2 shown]
	v_fmac_f32_e32 v15, 0xbf955555, v16
	v_fma_f32 v16, v23, s4, -v25
	v_fma_f32 v25, v24, s4, -v26
	;; [unrolled: 1-line block ×3, first 2 shown]
	v_fmac_f32_e32 v19, 0x3d64c772, v11
	v_fma_f32 v11, v24, s3, -v20
	v_fma_f32 v24, v13, s2, -v27
	v_fmac_f32_e32 v27, 0xbeae86e6, v17
	v_fma_f32 v26, v14, s2, -v28
	v_fma_f32 v29, v17, s5, -v29
	;; [unrolled: 1-line block ×3, first 2 shown]
	v_fmac_f32_e32 v20, 0x3d64c772, v12
	v_add_f32_e32 v16, v16, v31
	v_add_f32_e32 v23, v23, v31
	v_fmac_f32_e32 v26, 0xbee1c552, v10
	v_fmac_f32_e32 v17, 0xbee1c552, v10
	;; [unrolled: 1-line block ×3, first 2 shown]
	v_add_f32_e32 v20, v20, v15
	v_add_f32_e32 v18, v25, v15
	;; [unrolled: 1-line block ×3, first 2 shown]
	v_fmac_f32_e32 v27, 0xbee1c552, v9
	v_fmac_f32_e32 v24, 0xbee1c552, v9
	v_fmac_f32_e32 v29, 0xbee1c552, v9
	v_add_f32_e32 v11, v17, v23
	v_sub_f32_e32 v13, v16, v26
	v_add_f32_e32 v15, v26, v16
	v_sub_f32_e32 v17, v23, v17
	v_add_f32_e32 v23, v134, v147
	v_add_f32_e32 v26, v132, v146
	v_fmac_f32_e32 v28, 0xbee1c552, v10
	v_sub_f32_e32 v10, v20, v27
	v_sub_f32_e32 v12, v25, v29
	v_add_f32_e32 v14, v24, v18
	v_sub_f32_e32 v16, v18, v24
	v_add_f32_e32 v18, v29, v25
	v_add_f32_e32 v20, v27, v20
	;; [unrolled: 1-line block ×4, first 2 shown]
	v_sub_f32_e32 v22, v22, v149
	v_add_f32_e32 v29, v137, v140
	v_sub_f32_e32 v32, v141, v138
	v_add_f32_e32 v33, v26, v23
	v_add_f32_e32 v19, v19, v31
	v_sub_f32_e32 v21, v21, v148
	v_add_f32_e32 v30, v138, v141
	v_add_f32_e32 v34, v27, v24
	v_sub_f32_e32 v36, v26, v23
	v_sub_f32_e32 v23, v23, v29
	;; [unrolled: 1-line block ×3, first 2 shown]
	v_add_f32_e32 v39, v32, v22
	v_add_f32_e32 v29, v29, v33
	;; [unrolled: 1-line block ×3, first 2 shown]
	v_sub_f32_e32 v19, v19, v28
	v_sub_f32_e32 v25, v134, v147
	;; [unrolled: 1-line block ×10, first 2 shown]
	v_add_f32_e32 v30, v30, v34
	v_add_f32_e32 v33, v39, v21
	;; [unrolled: 1-line block ×4, first 2 shown]
	v_sub_f32_e32 v40, v31, v28
	v_sub_f32_e32 v28, v28, v25
	v_add_f32_e32 v22, v130, v30
	v_mov_b32_e32 v44, v21
	v_sub_f32_e32 v31, v25, v31
	v_add_f32_e32 v25, v38, v25
	v_mul_f32_e32 v23, 0x3f4a47b2, v23
	v_mul_f32_e32 v24, 0x3f4a47b2, v24
	;; [unrolled: 1-line block ×8, first 2 shown]
	v_fmac_f32_e32 v44, 0xbf955555, v29
	v_mov_b32_e32 v29, v22
	v_fmac_f32_e32 v29, 0xbf955555, v30
	v_fma_f32 v30, v36, s4, -v34
	v_fma_f32 v34, v37, s4, -v38
	;; [unrolled: 1-line block ×3, first 2 shown]
	v_fmac_f32_e32 v23, 0x3d64c772, v26
	v_fma_f32 v26, v37, s3, -v24
	v_fmac_f32_e32 v24, 0x3d64c772, v27
	v_fma_f32 v37, v28, s2, -v39
	v_fmac_f32_e32 v39, 0xbeae86e6, v31
	v_fma_f32 v38, v42, s2, -v40
	v_fmac_f32_e32 v40, 0xbeae86e6, v32
	v_fma_f32 v41, v31, s5, -v41
	v_fma_f32 v31, v32, s5, -v43
	v_add_f32_e32 v42, v23, v44
	v_add_f32_e32 v43, v24, v29
	;; [unrolled: 1-line block ×6, first 2 shown]
	v_fmac_f32_e32 v39, 0xbee1c552, v25
	v_fmac_f32_e32 v40, 0xbee1c552, v33
	;; [unrolled: 1-line block ×6, first 2 shown]
	v_add_f32_e32 v23, v40, v42
	v_sub_f32_e32 v24, v43, v39
	v_add_f32_e32 v25, v31, v34
	v_sub_f32_e32 v26, v36, v41
	v_sub_f32_e32 v27, v30, v38
	v_add_f32_e32 v28, v37, v32
	v_add_f32_e32 v29, v38, v30
	v_sub_f32_e32 v30, v32, v37
	v_sub_f32_e32 v31, v34, v31
	v_add_f32_e32 v32, v41, v36
	v_sub_f32_e32 v33, v42, v40
	v_add_f32_e32 v34, v39, v43
	s_waitcnt lgkmcnt(0)
	; wave barrier
	ds_write2_b64 v255, v[2:3], v[9:10] offset1:56
	ds_write2_b64 v255, v[11:12], v[13:14] offset0:112 offset1:168
	ds_write2_b64 v124, v[15:16], v[17:18] offset0:96 offset1:152
	;; [unrolled: 1-line block ×6, first 2 shown]
	buffer_load_dword v3, off, s[20:23], 0 offset:384 ; 4-byte Folded Reload
	v_add_f32_e32 v36, v150, v159
	v_add_f32_e32 v40, v152, v157
	;; [unrolled: 1-line block ×8, first 2 shown]
	v_sub_f32_e32 v50, v40, v36
	v_sub_f32_e32 v36, v36, v43
	;; [unrolled: 1-line block ×3, first 2 shown]
	v_add_f32_e32 v43, v43, v48
	v_sub_f32_e32 v42, v152, v157
	v_sub_f32_e32 v35, v35, v158
	;; [unrolled: 1-line block ×7, first 2 shown]
	v_add_f32_e32 v44, v44, v49
	v_add_f32_e32 v4, v4, v43
	v_sub_f32_e32 v38, v150, v159
	v_sub_f32_e32 v39, v151, v160
	v_add_f32_e32 v52, v45, v42
	v_add_f32_e32 v53, v46, v35
	v_sub_f32_e32 v54, v45, v42
	v_sub_f32_e32 v55, v46, v35
	v_add_f32_e32 v5, v5, v44
	v_mov_b32_e32 v56, v4
	v_sub_f32_e32 v45, v38, v45
	v_sub_f32_e32 v46, v39, v46
	;; [unrolled: 1-line block ×4, first 2 shown]
	v_add_f32_e32 v38, v52, v38
	v_add_f32_e32 v39, v53, v39
	v_mul_f32_e32 v36, 0x3f4a47b2, v36
	v_mul_f32_e32 v37, 0x3f4a47b2, v37
	;; [unrolled: 1-line block ×6, first 2 shown]
	v_fmac_f32_e32 v56, 0xbf955555, v43
	v_mov_b32_e32 v43, v5
	v_mul_f32_e32 v54, 0xbf5ff5aa, v42
	v_mul_f32_e32 v55, 0xbf5ff5aa, v35
	v_fmac_f32_e32 v43, 0xbf955555, v44
	v_fma_f32 v44, v50, s4, -v48
	v_fma_f32 v48, v51, s4, -v49
	;; [unrolled: 1-line block ×3, first 2 shown]
	v_fmac_f32_e32 v36, 0x3d64c772, v40
	v_fma_f32 v40, v51, s3, -v37
	v_fmac_f32_e32 v37, 0x3d64c772, v41
	v_fma_f32 v42, v42, s2, -v52
	;; [unrolled: 2-line block ×4, first 2 shown]
	v_fma_f32 v46, v46, s5, -v55
	v_add_f32_e32 v50, v36, v56
	v_add_f32_e32 v51, v37, v43
	v_fmac_f32_e32 v52, 0xbee1c552, v38
	v_fmac_f32_e32 v53, 0xbee1c552, v39
	v_add_f32_e32 v44, v44, v56
	v_add_f32_e32 v48, v48, v43
	;; [unrolled: 1-line block ×4, first 2 shown]
	v_fmac_f32_e32 v42, 0xbee1c552, v38
	v_fmac_f32_e32 v41, 0xbee1c552, v39
	v_fmac_f32_e32 v45, 0xbee1c552, v38
	v_fmac_f32_e32 v46, 0xbee1c552, v39
	v_add_f32_e32 v35, v53, v50
	v_sub_f32_e32 v36, v51, v52
	v_add_f32_e32 v37, v46, v49
	v_sub_f32_e32 v38, v54, v45
	v_sub_f32_e32 v39, v44, v41
	v_add_f32_e32 v40, v42, v48
	v_add_f32_e32 v41, v41, v44
	v_sub_f32_e32 v42, v48, v42
	v_sub_f32_e32 v43, v49, v46
	s_waitcnt vmcnt(0)
	v_add_u32_e32 v2, 0x1800, v3
	v_add_f32_e32 v44, v45, v54
	ds_write2_b64 v2, v[4:5], v[35:36] offset0:16 offset1:72
	ds_write2_b64 v2, v[37:38], v[39:40] offset0:128 offset1:184
	v_add_u32_e32 v2, 0x1c00, v3
	v_sub_f32_e32 v45, v50, v53
	v_add_f32_e32 v46, v52, v51
	ds_write2_b64 v2, v[41:42], v[43:44] offset0:112 offset1:168
	ds_write_b64 v3, v[45:46] offset:8960
	buffer_load_dword v3, off, s[20:23], 0 offset:388 ; 4-byte Folded Reload
	v_add_f32_e32 v48, v161, v170
	v_add_f32_e32 v52, v163, v168
	v_add_f32_e32 v49, v162, v171
	v_add_f32_e32 v53, v47, v169
	v_add_f32_e32 v55, v164, v166
	v_add_f32_e32 v127, v52, v48
	v_add_f32_e32 v56, v165, v167
	v_add_f32_e32 v128, v53, v49
	v_sub_f32_e32 v129, v52, v48
	v_sub_f32_e32 v48, v48, v55
	;; [unrolled: 1-line block ×3, first 2 shown]
	v_add_f32_e32 v55, v55, v127
	v_sub_f32_e32 v54, v163, v168
	v_sub_f32_e32 v47, v47, v169
	;; [unrolled: 1-line block ×7, first 2 shown]
	v_add_f32_e32 v56, v56, v128
	v_add_f32_e32 v6, v6, v55
	v_sub_f32_e32 v50, v161, v170
	v_sub_f32_e32 v51, v162, v171
	v_add_f32_e32 v131, v57, v54
	v_add_f32_e32 v132, v58, v47
	v_sub_f32_e32 v133, v57, v54
	v_sub_f32_e32 v134, v58, v47
	v_add_f32_e32 v7, v7, v56
	v_mov_b32_e32 v137, v6
	v_sub_f32_e32 v57, v50, v57
	v_sub_f32_e32 v58, v51, v58
	;; [unrolled: 1-line block ×4, first 2 shown]
	v_add_f32_e32 v50, v131, v50
	v_add_f32_e32 v51, v132, v51
	v_mul_f32_e32 v48, 0x3f4a47b2, v48
	v_mul_f32_e32 v49, 0x3f4a47b2, v49
	;; [unrolled: 1-line block ×6, first 2 shown]
	v_fmac_f32_e32 v137, 0xbf955555, v55
	v_mov_b32_e32 v55, v7
	v_mul_f32_e32 v133, 0xbf5ff5aa, v54
	v_mul_f32_e32 v134, 0xbf5ff5aa, v47
	v_fmac_f32_e32 v55, 0xbf955555, v56
	v_fma_f32 v56, v129, s4, -v127
	v_fma_f32 v127, v130, s4, -v128
	;; [unrolled: 1-line block ×3, first 2 shown]
	v_fmac_f32_e32 v48, 0x3d64c772, v52
	v_fma_f32 v52, v130, s3, -v49
	v_fmac_f32_e32 v49, 0x3d64c772, v53
	v_fma_f32 v54, v54, s2, -v131
	;; [unrolled: 2-line block ×4, first 2 shown]
	v_fma_f32 v58, v58, s5, -v134
	v_add_f32_e32 v129, v48, v137
	v_add_f32_e32 v130, v49, v55
	v_fmac_f32_e32 v131, 0xbee1c552, v50
	v_fmac_f32_e32 v132, 0xbee1c552, v51
	v_add_f32_e32 v56, v56, v137
	v_add_f32_e32 v127, v127, v55
	;; [unrolled: 1-line block ×4, first 2 shown]
	v_fmac_f32_e32 v54, 0xbee1c552, v50
	v_fmac_f32_e32 v53, 0xbee1c552, v51
	;; [unrolled: 1-line block ×4, first 2 shown]
	v_add_f32_e32 v47, v132, v129
	v_sub_f32_e32 v48, v130, v131
	v_add_f32_e32 v49, v58, v128
	v_sub_f32_e32 v50, v133, v57
	v_sub_f32_e32 v51, v56, v53
	v_add_f32_e32 v52, v54, v127
	v_add_f32_e32 v53, v53, v56
	v_sub_f32_e32 v54, v127, v54
	v_sub_f32_e32 v55, v128, v58
	s_waitcnt vmcnt(0)
	v_add_u32_e32 v2, 0x2000, v3
	ds_write2_b64 v2, v[6:7], v[47:48] offset0:152 offset1:208
	v_add_u32_e32 v2, 0x2800, v3
	v_add_f32_e32 v56, v57, v133
	v_sub_f32_e32 v57, v129, v132
	v_add_f32_e32 v58, v131, v130
	ds_write2_b64 v2, v[49:50], v[51:52] offset0:8 offset1:64
	ds_write2_b64 v2, v[53:54], v[55:56] offset0:120 offset1:176
	ds_write_b64 v3, v[57:58] offset:12096
	buffer_load_dword v3, off, s[20:23], 0 offset:392 ; 4-byte Folded Reload
	v_add_f32_e32 v127, v172, v177
	v_add_f32_e32 v131, v174, v144
	;; [unrolled: 1-line block ×8, first 2 shown]
	v_sub_f32_e32 v140, v131, v127
	v_sub_f32_e32 v127, v127, v134
	;; [unrolled: 1-line block ×3, first 2 shown]
	v_add_f32_e32 v134, v134, v138
	v_sub_f32_e32 v133, v174, v144
	v_sub_f32_e32 v59, v59, v176
	;; [unrolled: 1-line block ×7, first 2 shown]
	v_add_f32_e32 v137, v137, v139
	v_add_f32_e32 v0, v0, v134
	v_sub_f32_e32 v129, v172, v177
	v_sub_f32_e32 v130, v173, v178
	v_add_f32_e32 v142, v135, v133
	v_add_f32_e32 v143, v136, v59
	v_sub_f32_e32 v144, v135, v133
	v_sub_f32_e32 v145, v136, v59
	v_add_f32_e32 v1, v1, v137
	v_mov_b32_e32 v146, v0
	v_sub_f32_e32 v135, v129, v135
	v_sub_f32_e32 v136, v130, v136
	;; [unrolled: 1-line block ×4, first 2 shown]
	v_add_f32_e32 v129, v142, v129
	v_add_f32_e32 v130, v143, v130
	v_mul_f32_e32 v127, 0x3f4a47b2, v127
	v_mul_f32_e32 v128, 0x3f4a47b2, v128
	v_mul_f32_e32 v138, 0x3d64c772, v131
	v_mul_f32_e32 v139, 0x3d64c772, v132
	v_mul_f32_e32 v142, 0x3f08b237, v144
	v_mul_f32_e32 v143, 0x3f08b237, v145
	v_fmac_f32_e32 v146, 0xbf955555, v134
	v_mov_b32_e32 v134, v1
	v_mul_f32_e32 v144, 0xbf5ff5aa, v133
	v_mul_f32_e32 v145, 0xbf5ff5aa, v59
	v_fmac_f32_e32 v134, 0xbf955555, v137
	v_fma_f32 v137, v140, s4, -v138
	v_fma_f32 v138, v141, s4, -v139
	;; [unrolled: 1-line block ×3, first 2 shown]
	v_fmac_f32_e32 v127, 0x3d64c772, v131
	v_fma_f32 v131, v141, s3, -v128
	v_fmac_f32_e32 v128, 0x3d64c772, v132
	v_fma_f32 v140, v133, s2, -v142
	;; [unrolled: 2-line block ×4, first 2 shown]
	v_fma_f32 v135, v136, s5, -v145
	v_add_f32_e32 v144, v127, v146
	v_add_f32_e32 v145, v128, v134
	v_fmac_f32_e32 v142, 0xbee1c552, v129
	v_fmac_f32_e32 v143, 0xbee1c552, v130
	v_add_f32_e32 v133, v137, v146
	v_add_f32_e32 v136, v138, v134
	;; [unrolled: 1-line block ×4, first 2 shown]
	v_fmac_f32_e32 v140, 0xbee1c552, v129
	v_fmac_f32_e32 v59, 0xbee1c552, v130
	;; [unrolled: 1-line block ×4, first 2 shown]
	v_add_f32_e32 v127, v143, v144
	v_sub_f32_e32 v128, v145, v142
	v_add_f32_e32 v129, v135, v137
	v_sub_f32_e32 v130, v138, v141
	v_sub_f32_e32 v131, v133, v59
	v_add_f32_e32 v132, v140, v136
	v_add_f32_e32 v133, v59, v133
	v_sub_f32_e32 v134, v136, v140
	v_sub_f32_e32 v135, v137, v135
	s_waitcnt vmcnt(0)
	v_add_u32_e32 v2, 0x3000, v3
	v_add_f32_e32 v136, v141, v138
	v_sub_f32_e32 v137, v144, v143
	ds_write2_b64 v2, v[0:1], v[127:128] offset0:32 offset1:88
	ds_write2_b64 v2, v[129:130], v[131:132] offset0:144 offset1:200
	v_add_u32_e32 v0, 0x3800, v3
	v_add_f32_e32 v138, v142, v145
	ds_write2_b64 v0, v[133:134], v[135:136] offset1:56
	ds_write_b64 v3, v[137:138] offset:15232
	s_waitcnt lgkmcnt(0)
	; wave barrier
	s_waitcnt lgkmcnt(0)
	ds_read2_b64 v[12:15], v255 offset1:56
	ds_read2_b64 v[0:3], v121 offset0:80 offset1:136
	ds_read2_b64 v[16:19], v120 offset0:16 offset1:72
	;; [unrolled: 1-line block ×13, first 2 shown]
	ds_read2_b64 v[56:59], v119 offset1:56
	ds_read2_b64 v[127:130], v125 offset0:160 offset1:216
	ds_read2_b64 v[131:134], v118 offset0:176 offset1:232
	ds_read_b64 v[135:136], v255 offset:15232
	s_waitcnt lgkmcnt(14)
	v_mul_f32_e32 v137, v65, v3
	v_fmac_f32_e32 v137, v64, v2
	v_mul_f32_e32 v2, v65, v2
	v_fma_f32 v64, v64, v3, -v2
	v_mul_f32_e32 v65, v67, v17
	v_mul_f32_e32 v2, v67, v16
	v_fmac_f32_e32 v65, v66, v16
	v_fma_f32 v66, v66, v17, -v2
	v_mul_f32_e32 v67, v61, v23
	v_mul_f32_e32 v2, v61, v22
	v_fmac_f32_e32 v67, v60, v22
	v_fma_f32 v60, v60, v23, -v2
	s_waitcnt lgkmcnt(13)
	v_mul_f32_e32 v61, v63, v25
	v_mul_f32_e32 v2, v63, v24
	v_fmac_f32_e32 v61, v62, v24
	v_fma_f32 v62, v62, v25, -v2
	s_waitcnt lgkmcnt(12)
	v_mul_f32_e32 v63, v73, v29
	v_mul_f32_e32 v2, v73, v28
	v_fmac_f32_e32 v63, v72, v28
	v_fma_f32 v72, v72, v29, -v2
	v_mul_f32_e32 v73, v75, v19
	v_mul_f32_e32 v2, v75, v18
	v_fmac_f32_e32 v73, v74, v18
	v_fma_f32 v74, v74, v19, -v2
	s_waitcnt lgkmcnt(11)
	v_mul_f32_e32 v75, v69, v33
	v_mul_f32_e32 v2, v69, v32
	v_fmac_f32_e32 v75, v68, v32
	v_fma_f32 v68, v68, v33, -v2
	v_mul_f32_e32 v69, v71, v27
	v_mul_f32_e32 v2, v71, v26
	v_fmac_f32_e32 v69, v70, v26
	v_fma_f32 v70, v70, v27, -v2
	v_mul_f32_e32 v71, v81, v31
	v_mul_f32_e32 v2, v81, v30
	v_fmac_f32_e32 v71, v80, v30
	v_fma_f32 v80, v80, v31, -v2
	s_waitcnt lgkmcnt(9)
	v_mul_f32_e32 v81, v83, v37
	v_mul_f32_e32 v2, v83, v36
	v_fmac_f32_e32 v81, v82, v36
	v_fma_f32 v82, v82, v37, -v2
	v_mul_f32_e32 v83, v77, v35
	v_mul_f32_e32 v2, v77, v34
	v_fmac_f32_e32 v83, v76, v34
	v_fma_f32 v76, v76, v35, -v2
	s_waitcnt lgkmcnt(8)
	v_mul_f32_e32 v77, v79, v41
	v_mul_f32_e32 v2, v79, v40
	v_fmac_f32_e32 v77, v78, v40
	v_fma_f32 v78, v78, v41, -v2
	s_waitcnt lgkmcnt(7)
	v_mul_f32_e32 v79, v93, v45
	v_mul_f32_e32 v2, v93, v44
	v_fmac_f32_e32 v79, v92, v44
	v_fma_f32 v92, v92, v45, -v2
	v_mul_f32_e32 v93, v95, v39
	v_mul_f32_e32 v2, v95, v38
	v_fmac_f32_e32 v93, v94, v38
	v_fma_f32 v94, v94, v39, -v2
	s_waitcnt lgkmcnt(6)
	v_mul_f32_e32 v95, v89, v49
	v_mul_f32_e32 v2, v89, v48
	v_fmac_f32_e32 v95, v88, v48
	v_fma_f32 v88, v88, v49, -v2
	v_mul_f32_e32 v89, v91, v43
	v_mul_f32_e32 v2, v91, v42
	v_fmac_f32_e32 v89, v90, v42
	v_fma_f32 v90, v90, v43, -v2
	;; [unrolled: 4-line block ×3, first 2 shown]
	s_waitcnt lgkmcnt(4)
	v_mul_f32_e32 v97, v99, v53
	v_mul_f32_e32 v2, v99, v52
	v_fmac_f32_e32 v97, v98, v52
	v_fma_f32 v98, v98, v53, -v2
	v_mul_f32_e32 v99, v85, v51
	v_mul_f32_e32 v2, v85, v50
	v_fmac_f32_e32 v99, v84, v50
	v_fma_f32 v84, v84, v51, -v2
	s_waitcnt lgkmcnt(3)
	v_mul_f32_e32 v85, v87, v57
	v_mul_f32_e32 v2, v87, v56
	v_fmac_f32_e32 v85, v86, v56
	v_fma_f32 v86, v86, v57, -v2
	s_waitcnt lgkmcnt(2)
	v_mul_f32_e32 v87, v109, v128
	v_mul_f32_e32 v2, v109, v127
	v_fmac_f32_e32 v87, v108, v127
	v_fma_f32 v108, v108, v128, -v2
	v_mul_f32_e32 v109, v111, v55
	v_mul_f32_e32 v2, v111, v54
	v_fmac_f32_e32 v109, v110, v54
	v_fma_f32 v110, v110, v55, -v2
	s_waitcnt lgkmcnt(1)
	v_mul_f32_e32 v111, v105, v132
	v_mul_f32_e32 v2, v105, v131
	v_add_f32_e32 v3, v65, v67
	v_fmac_f32_e32 v111, v104, v131
	v_fma_f32 v104, v104, v132, -v2
	v_mul_f32_e32 v105, v107, v59
	v_mul_f32_e32 v2, v107, v58
	v_fma_f32 v16, -0.5, v3, v12
	v_fmac_f32_e32 v105, v106, v58
	v_fma_f32 v106, v106, v59, -v2
	v_mul_f32_e32 v2, v113, v129
	v_mul_f32_e32 v27, v115, v21
	v_sub_f32_e32 v3, v64, v62
	v_mov_b32_e32 v18, v16
	v_fma_f32 v22, v112, v130, -v2
	v_fmac_f32_e32 v27, v114, v20
	v_mul_f32_e32 v2, v115, v20
	v_fmac_f32_e32 v18, 0xbf737871, v3
	v_sub_f32_e32 v17, v66, v60
	v_sub_f32_e32 v19, v137, v65
	;; [unrolled: 1-line block ×3, first 2 shown]
	v_fmac_f32_e32 v16, 0x3f737871, v3
	v_fma_f32 v23, v114, v21, -v2
	v_mul_f32_e32 v2, v101, v133
	v_fmac_f32_e32 v18, 0xbf167918, v17
	v_add_f32_e32 v19, v19, v20
	v_fmac_f32_e32 v16, 0x3f167918, v17
	v_fma_f32 v24, v100, v134, -v2
	s_waitcnt lgkmcnt(0)
	v_mul_f32_e32 v2, v103, v135
	v_fmac_f32_e32 v18, 0x3e9e377a, v19
	v_fmac_f32_e32 v16, 0x3e9e377a, v19
	v_add_f32_e32 v19, v137, v61
	v_fma_f32 v25, v102, v136, -v2
	v_add_f32_e32 v2, v12, v137
	v_fma_f32 v12, -0.5, v19, v12
	v_mov_b32_e32 v20, v12
	v_fmac_f32_e32 v20, 0x3f737871, v17
	v_sub_f32_e32 v19, v65, v137
	v_sub_f32_e32 v21, v67, v61
	v_fmac_f32_e32 v12, 0xbf737871, v17
	v_add_f32_e32 v17, v66, v60
	v_fmac_f32_e32 v20, 0xbf167918, v3
	v_add_f32_e32 v19, v19, v21
	v_fmac_f32_e32 v12, 0x3f167918, v3
	v_fma_f32 v17, -0.5, v17, v13
	v_fmac_f32_e32 v20, 0x3e9e377a, v19
	v_fmac_f32_e32 v12, 0x3e9e377a, v19
	v_sub_f32_e32 v30, v137, v61
	v_mov_b32_e32 v19, v17
	v_fmac_f32_e32 v19, 0x3f737871, v30
	v_sub_f32_e32 v31, v65, v67
	v_sub_f32_e32 v21, v64, v66
	;; [unrolled: 1-line block ×3, first 2 shown]
	v_fmac_f32_e32 v17, 0xbf737871, v30
	v_fmac_f32_e32 v19, 0x3f167918, v31
	v_add_f32_e32 v21, v21, v32
	v_fmac_f32_e32 v17, 0xbf167918, v31
	v_fmac_f32_e32 v19, 0x3e9e377a, v21
	;; [unrolled: 1-line block ×3, first 2 shown]
	v_add_f32_e32 v21, v64, v62
	v_add_f32_e32 v3, v13, v64
	v_fma_f32 v13, -0.5, v21, v13
	v_mov_b32_e32 v21, v13
	v_fmac_f32_e32 v21, 0xbf737871, v31
	v_sub_f32_e32 v32, v66, v64
	v_sub_f32_e32 v33, v60, v62
	v_fmac_f32_e32 v13, 0x3f737871, v31
	v_fmac_f32_e32 v21, 0x3f167918, v30
	v_add_f32_e32 v32, v32, v33
	v_fmac_f32_e32 v13, 0xbf167918, v30
	v_add_f32_e32 v31, v73, v75
	v_fmac_f32_e32 v21, 0x3e9e377a, v32
	v_fmac_f32_e32 v13, 0x3e9e377a, v32
	v_fma_f32 v32, -0.5, v31, v14
	v_sub_f32_e32 v31, v72, v70
	v_mov_b32_e32 v34, v32
	v_fmac_f32_e32 v34, 0xbf737871, v31
	v_sub_f32_e32 v33, v74, v68
	v_sub_f32_e32 v35, v63, v73
	;; [unrolled: 1-line block ×3, first 2 shown]
	v_fmac_f32_e32 v32, 0x3f737871, v31
	v_fmac_f32_e32 v34, 0xbf167918, v33
	v_add_f32_e32 v35, v35, v36
	v_fmac_f32_e32 v32, 0x3f167918, v33
	v_fmac_f32_e32 v34, 0x3e9e377a, v35
	v_fmac_f32_e32 v32, 0x3e9e377a, v35
	v_add_f32_e32 v35, v63, v69
	v_add_f32_e32 v30, v14, v63
	v_fma_f32 v14, -0.5, v35, v14
	v_mov_b32_e32 v36, v14
	v_fmac_f32_e32 v36, 0x3f737871, v33
	v_sub_f32_e32 v35, v73, v63
	v_sub_f32_e32 v37, v75, v69
	v_fmac_f32_e32 v14, 0xbf737871, v33
	v_add_f32_e32 v33, v74, v68
	v_fmac_f32_e32 v36, 0xbf167918, v31
	v_add_f32_e32 v35, v35, v37
	v_fmac_f32_e32 v14, 0x3f167918, v31
	v_fma_f32 v33, -0.5, v33, v15
	v_fmac_f32_e32 v36, 0x3e9e377a, v35
	v_fmac_f32_e32 v14, 0x3e9e377a, v35
	v_sub_f32_e32 v38, v63, v69
	v_mov_b32_e32 v35, v33
	v_fmac_f32_e32 v35, 0x3f737871, v38
	v_sub_f32_e32 v39, v73, v75
	v_sub_f32_e32 v37, v72, v74
	;; [unrolled: 1-line block ×3, first 2 shown]
	v_fmac_f32_e32 v33, 0xbf737871, v38
	v_fmac_f32_e32 v35, 0x3f167918, v39
	v_add_f32_e32 v37, v37, v40
	v_fmac_f32_e32 v33, 0xbf167918, v39
	v_fmac_f32_e32 v35, 0x3e9e377a, v37
	;; [unrolled: 1-line block ×3, first 2 shown]
	v_add_f32_e32 v37, v72, v70
	v_add_f32_e32 v31, v15, v72
	v_fmac_f32_e32 v15, -0.5, v37
	v_mov_b32_e32 v37, v15
	v_fmac_f32_e32 v37, 0xbf737871, v39
	v_sub_f32_e32 v40, v74, v72
	v_sub_f32_e32 v41, v68, v70
	v_fmac_f32_e32 v15, 0x3f737871, v39
	v_fmac_f32_e32 v37, 0x3f167918, v38
	v_add_f32_e32 v40, v40, v41
	v_fmac_f32_e32 v15, 0xbf167918, v38
	v_add_f32_e32 v39, v81, v83
	v_fmac_f32_e32 v37, 0x3e9e377a, v40
	v_fmac_f32_e32 v15, 0x3e9e377a, v40
	v_fma_f32 v40, -0.5, v39, v8
	v_sub_f32_e32 v39, v80, v78
	v_mov_b32_e32 v42, v40
	v_fmac_f32_e32 v42, 0xbf737871, v39
	v_sub_f32_e32 v41, v82, v76
	v_sub_f32_e32 v43, v71, v81
	;; [unrolled: 1-line block ×3, first 2 shown]
	v_fmac_f32_e32 v40, 0x3f737871, v39
	v_fmac_f32_e32 v42, 0xbf167918, v41
	v_add_f32_e32 v43, v43, v44
	v_fmac_f32_e32 v40, 0x3f167918, v41
	v_fmac_f32_e32 v42, 0x3e9e377a, v43
	;; [unrolled: 1-line block ×3, first 2 shown]
	v_add_f32_e32 v43, v71, v77
	v_add_f32_e32 v38, v8, v71
	v_fma_f32 v8, -0.5, v43, v8
	v_mov_b32_e32 v44, v8
	v_fmac_f32_e32 v44, 0x3f737871, v41
	v_sub_f32_e32 v43, v81, v71
	v_sub_f32_e32 v45, v83, v77
	v_fmac_f32_e32 v8, 0xbf737871, v41
	v_add_f32_e32 v41, v82, v76
	v_fmac_f32_e32 v44, 0xbf167918, v39
	v_add_f32_e32 v43, v43, v45
	v_fmac_f32_e32 v8, 0x3f167918, v39
	v_fma_f32 v41, -0.5, v41, v9
	v_fmac_f32_e32 v44, 0x3e9e377a, v43
	v_fmac_f32_e32 v8, 0x3e9e377a, v43
	v_sub_f32_e32 v46, v71, v77
	v_mov_b32_e32 v43, v41
	v_fmac_f32_e32 v43, 0x3f737871, v46
	v_sub_f32_e32 v47, v81, v83
	v_sub_f32_e32 v45, v80, v82
	;; [unrolled: 1-line block ×3, first 2 shown]
	v_fmac_f32_e32 v41, 0xbf737871, v46
	v_fmac_f32_e32 v43, 0x3f167918, v47
	v_add_f32_e32 v45, v45, v48
	v_fmac_f32_e32 v41, 0xbf167918, v47
	v_fmac_f32_e32 v43, 0x3e9e377a, v45
	;; [unrolled: 1-line block ×3, first 2 shown]
	v_add_f32_e32 v45, v80, v78
	v_add_f32_e32 v39, v9, v80
	v_fma_f32 v9, -0.5, v45, v9
	v_mov_b32_e32 v45, v9
	v_fmac_f32_e32 v45, 0xbf737871, v47
	v_sub_f32_e32 v48, v82, v80
	v_sub_f32_e32 v49, v76, v78
	v_fmac_f32_e32 v9, 0x3f737871, v47
	v_fmac_f32_e32 v45, 0x3f167918, v46
	v_add_f32_e32 v48, v48, v49
	v_fmac_f32_e32 v9, 0xbf167918, v46
	v_add_f32_e32 v47, v93, v95
	v_fmac_f32_e32 v45, 0x3e9e377a, v48
	v_fmac_f32_e32 v9, 0x3e9e377a, v48
	v_fma_f32 v48, -0.5, v47, v10
	v_sub_f32_e32 v47, v92, v90
	v_mov_b32_e32 v50, v48
	v_fmac_f32_e32 v50, 0xbf737871, v47
	v_sub_f32_e32 v49, v94, v88
	v_sub_f32_e32 v51, v79, v93
	;; [unrolled: 1-line block ×3, first 2 shown]
	v_fmac_f32_e32 v48, 0x3f737871, v47
	v_fmac_f32_e32 v50, 0xbf167918, v49
	v_add_f32_e32 v51, v51, v52
	v_fmac_f32_e32 v48, 0x3f167918, v49
	v_fmac_f32_e32 v50, 0x3e9e377a, v51
	;; [unrolled: 1-line block ×3, first 2 shown]
	v_add_f32_e32 v51, v79, v89
	v_add_f32_e32 v46, v10, v79
	v_fma_f32 v10, -0.5, v51, v10
	v_mov_b32_e32 v52, v10
	v_fmac_f32_e32 v52, 0x3f737871, v49
	v_sub_f32_e32 v51, v93, v79
	v_sub_f32_e32 v53, v95, v89
	v_fmac_f32_e32 v10, 0xbf737871, v49
	v_add_f32_e32 v49, v94, v88
	v_fmac_f32_e32 v52, 0xbf167918, v47
	v_add_f32_e32 v51, v51, v53
	v_fmac_f32_e32 v10, 0x3f167918, v47
	v_fma_f32 v49, -0.5, v49, v11
	v_fmac_f32_e32 v52, 0x3e9e377a, v51
	v_fmac_f32_e32 v10, 0x3e9e377a, v51
	v_sub_f32_e32 v54, v79, v89
	v_mov_b32_e32 v51, v49
	v_fmac_f32_e32 v51, 0x3f737871, v54
	v_sub_f32_e32 v55, v93, v95
	v_sub_f32_e32 v53, v92, v94
	;; [unrolled: 1-line block ×3, first 2 shown]
	v_fmac_f32_e32 v49, 0xbf737871, v54
	v_fmac_f32_e32 v51, 0x3f167918, v55
	v_add_f32_e32 v53, v53, v56
	v_fmac_f32_e32 v49, 0xbf167918, v55
	v_fmac_f32_e32 v51, 0x3e9e377a, v53
	;; [unrolled: 1-line block ×3, first 2 shown]
	v_add_f32_e32 v53, v92, v90
	v_add_f32_e32 v47, v11, v92
	v_fmac_f32_e32 v11, -0.5, v53
	v_mov_b32_e32 v53, v11
	v_fmac_f32_e32 v53, 0xbf737871, v55
	v_sub_f32_e32 v56, v94, v92
	v_sub_f32_e32 v57, v88, v90
	v_fmac_f32_e32 v11, 0x3f737871, v55
	v_fmac_f32_e32 v53, 0x3f167918, v54
	v_add_f32_e32 v56, v56, v57
	v_fmac_f32_e32 v11, 0xbf167918, v54
	v_add_f32_e32 v55, v97, v99
	v_fmac_f32_e32 v53, 0x3e9e377a, v56
	v_fmac_f32_e32 v11, 0x3e9e377a, v56
	v_fma_f32 v56, -0.5, v55, v4
	v_add_f32_e32 v3, v3, v66
	v_sub_f32_e32 v55, v96, v86
	v_mov_b32_e32 v58, v56
	v_add_f32_e32 v3, v3, v60
	v_fmac_f32_e32 v58, 0xbf737871, v55
	v_sub_f32_e32 v57, v98, v84
	v_sub_f32_e32 v59, v91, v97
	;; [unrolled: 1-line block ×3, first 2 shown]
	v_fmac_f32_e32 v56, 0x3f737871, v55
	v_fmac_f32_e32 v58, 0xbf167918, v57
	v_add_f32_e32 v59, v59, v60
	v_fmac_f32_e32 v56, 0x3f167918, v57
	v_fmac_f32_e32 v58, 0x3e9e377a, v59
	v_fmac_f32_e32 v56, 0x3e9e377a, v59
	v_add_f32_e32 v59, v91, v85
	v_add_f32_e32 v2, v2, v65
	;; [unrolled: 1-line block ×3, first 2 shown]
	v_fma_f32 v4, -0.5, v59, v4
	v_add_f32_e32 v2, v2, v67
	v_mov_b32_e32 v60, v4
	v_add_f32_e32 v2, v2, v61
	v_fmac_f32_e32 v60, 0x3f737871, v57
	v_sub_f32_e32 v59, v97, v91
	v_sub_f32_e32 v61, v99, v85
	v_fmac_f32_e32 v4, 0xbf737871, v57
	v_add_f32_e32 v57, v98, v84
	v_fmac_f32_e32 v60, 0xbf167918, v55
	v_add_f32_e32 v59, v59, v61
	v_fmac_f32_e32 v4, 0x3f167918, v55
	v_fma_f32 v57, -0.5, v57, v5
	v_add_f32_e32 v3, v3, v62
	v_fmac_f32_e32 v60, 0x3e9e377a, v59
	v_fmac_f32_e32 v4, 0x3e9e377a, v59
	v_sub_f32_e32 v62, v91, v85
	v_mov_b32_e32 v59, v57
	v_fmac_f32_e32 v59, 0x3f737871, v62
	v_sub_f32_e32 v63, v97, v99
	v_sub_f32_e32 v61, v96, v98
	;; [unrolled: 1-line block ×3, first 2 shown]
	v_fmac_f32_e32 v57, 0xbf737871, v62
	v_fmac_f32_e32 v59, 0x3f167918, v63
	v_add_f32_e32 v61, v61, v64
	v_fmac_f32_e32 v57, 0xbf167918, v63
	v_fmac_f32_e32 v59, 0x3e9e377a, v61
	v_fmac_f32_e32 v57, 0x3e9e377a, v61
	v_add_f32_e32 v61, v96, v86
	v_add_f32_e32 v55, v5, v96
	v_fma_f32 v5, -0.5, v61, v5
	v_mov_b32_e32 v61, v5
	v_fmac_f32_e32 v61, 0xbf737871, v63
	v_sub_f32_e32 v64, v98, v96
	v_sub_f32_e32 v65, v84, v86
	v_fmac_f32_e32 v5, 0x3f737871, v63
	v_fmac_f32_e32 v61, 0x3f167918, v62
	v_add_f32_e32 v64, v64, v65
	v_fmac_f32_e32 v5, 0xbf167918, v62
	v_add_f32_e32 v63, v109, v111
	v_fmac_f32_e32 v61, 0x3e9e377a, v64
	v_fmac_f32_e32 v5, 0x3e9e377a, v64
	v_fma_f32 v64, -0.5, v63, v6
	v_add_f32_e32 v31, v31, v74
	v_sub_f32_e32 v63, v108, v106
	v_mov_b32_e32 v66, v64
	v_add_f32_e32 v31, v31, v68
	v_fmac_f32_e32 v66, 0xbf737871, v63
	v_sub_f32_e32 v65, v110, v104
	v_sub_f32_e32 v67, v87, v109
	;; [unrolled: 1-line block ×3, first 2 shown]
	v_fmac_f32_e32 v64, 0x3f737871, v63
	v_fmac_f32_e32 v66, 0xbf167918, v65
	v_add_f32_e32 v67, v67, v68
	v_fmac_f32_e32 v64, 0x3f167918, v65
	v_fmac_f32_e32 v66, 0x3e9e377a, v67
	;; [unrolled: 1-line block ×3, first 2 shown]
	v_add_f32_e32 v67, v87, v105
	v_add_f32_e32 v30, v30, v73
	;; [unrolled: 1-line block ×3, first 2 shown]
	v_fma_f32 v6, -0.5, v67, v6
	v_add_f32_e32 v30, v30, v75
	v_mov_b32_e32 v68, v6
	v_add_f32_e32 v30, v30, v69
	v_fmac_f32_e32 v68, 0x3f737871, v65
	v_sub_f32_e32 v67, v109, v87
	v_sub_f32_e32 v69, v111, v105
	v_fmac_f32_e32 v6, 0xbf737871, v65
	v_add_f32_e32 v65, v110, v104
	v_fmac_f32_e32 v68, 0xbf167918, v63
	v_add_f32_e32 v67, v67, v69
	v_fmac_f32_e32 v6, 0x3f167918, v63
	v_fma_f32 v65, -0.5, v65, v7
	v_add_f32_e32 v31, v31, v70
	v_fmac_f32_e32 v68, 0x3e9e377a, v67
	v_fmac_f32_e32 v6, 0x3e9e377a, v67
	v_sub_f32_e32 v70, v87, v105
	v_mov_b32_e32 v67, v65
	v_fmac_f32_e32 v67, 0x3f737871, v70
	v_sub_f32_e32 v71, v109, v111
	v_sub_f32_e32 v69, v108, v110
	;; [unrolled: 1-line block ×3, first 2 shown]
	v_fmac_f32_e32 v65, 0xbf737871, v70
	v_fmac_f32_e32 v67, 0x3f167918, v71
	v_add_f32_e32 v69, v69, v72
	v_fmac_f32_e32 v65, 0xbf167918, v71
	v_fmac_f32_e32 v67, 0x3e9e377a, v69
	v_fmac_f32_e32 v65, 0x3e9e377a, v69
	v_add_f32_e32 v69, v108, v106
	v_add_f32_e32 v63, v7, v108
	v_fmac_f32_e32 v7, -0.5, v69
	v_mul_f32_e32 v28, v101, v134
	v_mov_b32_e32 v69, v7
	v_fmac_f32_e32 v28, v100, v133
	v_fmac_f32_e32 v69, 0xbf737871, v71
	v_sub_f32_e32 v72, v110, v108
	v_sub_f32_e32 v73, v104, v106
	v_fmac_f32_e32 v7, 0x3f737871, v71
	v_fmac_f32_e32 v69, 0x3f167918, v70
	v_add_f32_e32 v72, v72, v73
	v_fmac_f32_e32 v7, 0xbf167918, v70
	v_add_f32_e32 v71, v27, v28
	v_mul_f32_e32 v26, v113, v130
	v_mul_f32_e32 v29, v103, v136
	v_fmac_f32_e32 v69, 0x3e9e377a, v72
	v_fmac_f32_e32 v7, 0x3e9e377a, v72
	v_fma_f32 v72, -0.5, v71, v0
	v_fmac_f32_e32 v26, v112, v129
	v_fmac_f32_e32 v29, v102, v135
	v_add_f32_e32 v39, v39, v82
	v_sub_f32_e32 v71, v22, v25
	v_mov_b32_e32 v74, v72
	v_add_f32_e32 v39, v39, v76
	v_fmac_f32_e32 v74, 0xbf737871, v71
	v_sub_f32_e32 v73, v23, v24
	v_sub_f32_e32 v75, v26, v27
	;; [unrolled: 1-line block ×3, first 2 shown]
	v_fmac_f32_e32 v72, 0x3f737871, v71
	v_fmac_f32_e32 v74, 0xbf167918, v73
	v_add_f32_e32 v75, v75, v76
	v_fmac_f32_e32 v72, 0x3f167918, v73
	v_fmac_f32_e32 v74, 0x3e9e377a, v75
	;; [unrolled: 1-line block ×3, first 2 shown]
	v_add_f32_e32 v75, v26, v29
	v_add_f32_e32 v38, v38, v81
	;; [unrolled: 1-line block ×3, first 2 shown]
	v_fma_f32 v0, -0.5, v75, v0
	v_add_f32_e32 v38, v38, v83
	v_mov_b32_e32 v76, v0
	v_add_f32_e32 v38, v38, v77
	v_fmac_f32_e32 v76, 0x3f737871, v73
	v_sub_f32_e32 v75, v27, v26
	v_sub_f32_e32 v77, v28, v29
	v_fmac_f32_e32 v0, 0xbf737871, v73
	v_add_f32_e32 v73, v23, v24
	v_add_f32_e32 v70, v70, v27
	v_fmac_f32_e32 v76, 0xbf167918, v71
	v_add_f32_e32 v75, v75, v77
	v_fmac_f32_e32 v0, 0x3f167918, v71
	v_fma_f32 v73, -0.5, v73, v1
	v_add_f32_e32 v70, v70, v28
	v_fmac_f32_e32 v76, 0x3e9e377a, v75
	v_fmac_f32_e32 v0, 0x3e9e377a, v75
	v_sub_f32_e32 v26, v26, v29
	v_mov_b32_e32 v75, v73
	v_add_f32_e32 v70, v70, v29
	v_fmac_f32_e32 v75, 0x3f737871, v26
	v_sub_f32_e32 v27, v27, v28
	v_sub_f32_e32 v28, v22, v23
	;; [unrolled: 1-line block ×3, first 2 shown]
	v_fmac_f32_e32 v73, 0xbf737871, v26
	v_fmac_f32_e32 v75, 0x3f167918, v27
	v_add_f32_e32 v28, v28, v29
	v_fmac_f32_e32 v73, 0xbf167918, v27
	v_fmac_f32_e32 v75, 0x3e9e377a, v28
	;; [unrolled: 1-line block ×3, first 2 shown]
	v_add_f32_e32 v28, v22, v25
	v_add_f32_e32 v71, v1, v22
	v_fmac_f32_e32 v1, -0.5, v28
	v_mov_b32_e32 v77, v1
	v_add_f32_e32 v46, v46, v93
	v_add_f32_e32 v47, v47, v94
	;; [unrolled: 1-line block ×7, first 2 shown]
	v_fmac_f32_e32 v77, 0xbf737871, v27
	v_sub_f32_e32 v22, v23, v22
	v_sub_f32_e32 v23, v24, v25
	v_fmac_f32_e32 v1, 0x3f737871, v27
	v_add_f32_e32 v46, v46, v95
	v_add_f32_e32 v47, v47, v88
	;; [unrolled: 1-line block ×7, first 2 shown]
	v_fmac_f32_e32 v77, 0x3f167918, v26
	v_add_f32_e32 v22, v22, v23
	v_fmac_f32_e32 v1, 0xbf167918, v26
	v_add_f32_e32 v39, v39, v78
	v_add_f32_e32 v46, v46, v89
	;; [unrolled: 1-line block ×8, first 2 shown]
	v_fmac_f32_e32 v77, 0x3e9e377a, v22
	v_fmac_f32_e32 v1, 0x3e9e377a, v22
	ds_write_b64 v255, v[18:19] offset:3136
	ds_write_b64 v255, v[20:21] offset:6272
	;; [unrolled: 1-line block ×4, first 2 shown]
	ds_write2_b64 v255, v[2:3], v[30:31] offset1:56
	ds_write_b64 v255, v[36:37] offset:6720
	ds_write_b64 v255, v[14:15] offset:9856
	;; [unrolled: 1-line block ×3, first 2 shown]
	ds_write2_b64 v121, v[34:35], v[42:43] offset0:192 offset1:248
	ds_write_b64 v255, v[8:9] offset:10304
	ds_write_b64 v255, v[40:41] offset:13440
	ds_write2_b64 v255, v[38:39], v[46:47] offset0:112 offset1:168
	ds_write2_b64 v120, v[44:45], v[52:53] offset0:128 offset1:184
	ds_write_b64 v255, v[10:11] offset:10752
	ds_write_b64 v255, v[48:49] offset:13888
	ds_write2_b64 v125, v[50:51], v[58:59] offset0:48 offset1:104
	ds_write_b64 v255, v[4:5] offset:11200
	ds_write_b64 v255, v[56:57] offset:14336
	ds_write2_b64 v124, v[54:55], v[62:63] offset0:96 offset1:152
	ds_write2_b64 v126, v[60:61], v[68:69] offset0:112 offset1:168
	ds_write_b64 v255, v[6:7] offset:11648
	ds_write_b64 v255, v[64:65] offset:14784
	;; [unrolled: 1-line block ×3, first 2 shown]
	ds_write2_b64 v125, v[66:67], v[74:75] offset0:160 offset1:216
	ds_write_b64 v255, v[76:77] offset:8960
	ds_write_b64 v255, v[0:1] offset:12096
	ds_write_b64 v255, v[72:73] offset:15232
	s_waitcnt lgkmcnt(0)
	; wave barrier
	s_waitcnt lgkmcnt(0)
	ds_read2_b64 v[2:5], v255 offset1:56
	buffer_load_dword v6, off, s[20:23], 0 offset:168 ; 4-byte Folded Reload
	buffer_load_dword v7, off, s[20:23], 0 offset:172 ; 4-byte Folded Reload
	s_mov_b32 s2, 0xec259dc8
	s_mov_b32 s3, 0x3f40b7e6
	v_mad_u64_u32 v[10:11], s[4:5], s8, v222, 0
	v_mov_b32_e32 v14, s7
	s_mul_hi_u32 s7, s8, 0xffffd3d0
	s_sub_i32 s7, s7, s8
	s_movk_i32 s12, 0x1000
	s_movk_i32 s11, 0x2000
	;; [unrolled: 1-line block ×3, first 2 shown]
	s_and_b64 s[0:1], exec, s[0:1]
	s_waitcnt vmcnt(0) lgkmcnt(0)
	v_mul_f32_e32 v0, v7, v3
	v_fmac_f32_e32 v0, v6, v2
	v_mul_f32_e32 v2, v7, v2
	v_cvt_f64_f32_e32 v[0:1], v0
	v_fma_f32 v2, v6, v3, -v2
	v_cvt_f64_f32_e32 v[2:3], v2
	v_mul_f64 v[0:1], v[0:1], s[2:3]
	v_mul_f64 v[2:3], v[2:3], s[2:3]
	v_cvt_f32_f64_e32 v0, v[0:1]
	v_mov_b32_e32 v1, v11
	v_mad_u64_u32 v[11:12], s[4:5], s9, v222, v[1:2]
	v_add_u32_e32 v1, 0xc00, v255
	ds_read2_b64 v[6:9], v1 offset0:106 offset1:162
	buffer_load_dword v15, off, s[20:23], 0 offset:176 ; 4-byte Folded Reload
	buffer_load_dword v16, off, s[20:23], 0 offset:180 ; 4-byte Folded Reload
	v_cvt_f32_f64_e32 v1, v[2:3]
	v_lshlrev_b64 v[2:3], 3, v[116:117]
	v_lshlrev_b64 v[10:11], 3, v[10:11]
	v_add_co_u32_e32 v2, vcc, s6, v2
	v_addc_co_u32_e32 v3, vcc, v14, v3, vcc
	v_add_co_u32_e32 v18, vcc, v2, v10
	v_addc_co_u32_e32 v19, vcc, v3, v11, vcc
	global_store_dwordx2 v[18:19], v[0:1], off
	s_mul_i32 s4, s9, 0x1ea
	s_mul_hi_u32 s5, s8, 0x1ea
	s_add_i32 s5, s5, s4
	s_mul_i32 s4, s8, 0x1ea
	s_lshl_b64 s[4:5], s[4:5], 3
	v_mov_b32_e32 v1, s5
	v_add_co_u32_e32 v18, vcc, s4, v18
	v_addc_co_u32_e32 v19, vcc, v19, v1, vcc
	s_mul_i32 s6, s9, 0xffffd3d0
	s_add_i32 s6, s7, s6
	s_mul_i32 s7, s8, 0xffffd3d0
	s_waitcnt vmcnt(1) lgkmcnt(0)
	v_mul_f32_e32 v12, v16, v7
	v_fmac_f32_e32 v12, v15, v6
	v_cvt_f64_f32_e32 v[12:13], v12
	v_mul_f32_e32 v6, v16, v6
	v_fma_f32 v6, v15, v7, -v6
	v_cvt_f64_f32_e32 v[6:7], v6
	v_mul_f64 v[12:13], v[12:13], s[2:3]
	v_mul_f64 v[6:7], v[6:7], s[2:3]
	v_cvt_f32_f64_e32 v20, v[12:13]
	ds_read2_b64 v[10:13], v126 offset0:84 offset1:140
	buffer_load_dword v14, off, s[20:23], 0 offset:248 ; 4-byte Folded Reload
	buffer_load_dword v15, off, s[20:23], 0 offset:252 ; 4-byte Folded Reload
	v_cvt_f32_f64_e32 v21, v[6:7]
	global_store_dwordx2 v[18:19], v[20:21], off
	v_add_co_u32_e32 v18, vcc, s4, v18
	v_addc_co_u32_e32 v19, vcc, v19, v1, vcc
	s_waitcnt vmcnt(1) lgkmcnt(0)
	v_mul_f32_e32 v0, v15, v11
	v_fmac_f32_e32 v0, v14, v10
	v_cvt_f64_f32_e32 v[6:7], v0
	v_mul_f32_e32 v0, v15, v10
	v_fma_f32 v0, v14, v11, -v0
	ds_read2_b64 v[14:17], v118 offset0:190 offset1:246
	buffer_load_dword v20, off, s[20:23], 0 offset:240 ; 4-byte Folded Reload
	buffer_load_dword v21, off, s[20:23], 0 offset:244 ; 4-byte Folded Reload
	;; [unrolled: 1-line block ×4, first 2 shown]
	v_cvt_f64_f32_e32 v[10:11], v0
	v_mul_f64 v[6:7], v[6:7], s[2:3]
	v_mul_f64 v[10:11], v[10:11], s[2:3]
	v_cvt_f32_f64_e32 v6, v[6:7]
	v_cvt_f32_f64_e32 v7, v[10:11]
	global_store_dwordx2 v[18:19], v[6:7], off
	s_waitcnt vmcnt(3) lgkmcnt(0)
	v_mul_f32_e32 v0, v21, v15
	v_fmac_f32_e32 v0, v20, v14
	v_cvt_f64_f32_e32 v[10:11], v0
	v_mul_f32_e32 v0, v21, v14
	v_fma_f32 v0, v20, v15, -v0
	v_cvt_f64_f32_e32 v[14:15], v0
	v_mul_f64 v[10:11], v[10:11], s[2:3]
	s_waitcnt vmcnt(1)
	v_mul_f32_e32 v0, v23, v5
	v_fmac_f32_e32 v0, v22, v4
	v_mul_f64 v[14:15], v[14:15], s[2:3]
	v_cvt_f64_f32_e32 v[20:21], v0
	v_mul_f32_e32 v0, v23, v4
	v_fma_f32 v0, v22, v5, -v0
	v_cvt_f64_f32_e32 v[4:5], v0
	v_cvt_f32_f64_e32 v6, v[10:11]
	v_mul_f64 v[10:11], v[20:21], s[2:3]
	v_cvt_f32_f64_e32 v7, v[14:15]
	v_add_co_u32_e32 v14, vcc, s4, v18
	v_addc_co_u32_e32 v15, vcc, v19, v1, vcc
	global_store_dwordx2 v[14:15], v[6:7], off
	v_cvt_f32_f64_e32 v6, v[10:11]
	buffer_load_dword v10, off, s[20:23], 0 offset:200 ; 4-byte Folded Reload
	buffer_load_dword v11, off, s[20:23], 0 offset:204 ; 4-byte Folded Reload
	v_mul_f64 v[4:5], v[4:5], s[2:3]
	v_cvt_f32_f64_e32 v7, v[4:5]
	s_waitcnt vmcnt(0)
	v_mul_f32_e32 v0, v11, v9
	v_fmac_f32_e32 v0, v10, v8
	v_cvt_f64_f32_e32 v[4:5], v0
	v_mul_f32_e32 v0, v11, v8
	v_fma_f32 v0, v10, v9, -v0
	v_cvt_f64_f32_e32 v[8:9], v0
	v_mul_f64 v[4:5], v[4:5], s[2:3]
	v_mov_b32_e32 v0, s6
	v_add_co_u32_e32 v10, vcc, s7, v14
	v_mul_f64 v[8:9], v[8:9], s[2:3]
	v_addc_co_u32_e32 v11, vcc, v15, v0, vcc
	global_store_dwordx2 v[10:11], v[6:7], off
	v_cvt_f32_f64_e32 v4, v[4:5]
	v_add_co_u32_e32 v10, vcc, s4, v10
	v_addc_co_u32_e32 v11, vcc, v11, v1, vcc
	v_cvt_f32_f64_e32 v5, v[8:9]
	buffer_load_dword v8, off, s[20:23], 0 offset:184 ; 4-byte Folded Reload
	buffer_load_dword v9, off, s[20:23], 0 offset:188 ; 4-byte Folded Reload
	s_waitcnt vmcnt(0)
	v_mul_f32_e32 v0, v9, v13
	v_fmac_f32_e32 v0, v8, v12
	v_cvt_f64_f32_e32 v[6:7], v0
	v_mul_f32_e32 v0, v9, v12
	global_store_dwordx2 v[10:11], v[4:5], off
	v_fma_f32 v0, v8, v13, -v0
	buffer_load_dword v12, off, s[20:23], 0 offset:192 ; 4-byte Folded Reload
	buffer_load_dword v13, off, s[20:23], 0 offset:196 ; 4-byte Folded Reload
	v_cvt_f64_f32_e32 v[8:9], v0
	v_mul_f64 v[4:5], v[6:7], s[2:3]
	v_mul_f64 v[6:7], v[8:9], s[2:3]
	v_cvt_f32_f64_e32 v14, v[4:5]
	v_cvt_f32_f64_e32 v15, v[6:7]
	ds_read2_b64 v[4:7], v255 offset0:112 offset1:168
	buffer_load_dword v18, off, s[20:23], 0 offset:80 ; 4-byte Folded Reload
	buffer_load_dword v19, off, s[20:23], 0 offset:84 ; 4-byte Folded Reload
	s_waitcnt vmcnt(2)
	v_mul_f32_e32 v0, v13, v17
	v_fmac_f32_e32 v0, v12, v16
	v_cvt_f64_f32_e32 v[8:9], v0
	v_mul_f32_e32 v0, v13, v16
	v_fma_f32 v0, v12, v17, -v0
	v_cvt_f64_f32_e32 v[12:13], v0
	v_mul_f64 v[8:9], v[8:9], s[2:3]
	v_add_co_u32_e32 v16, vcc, s4, v10
	v_mul_f64 v[12:13], v[12:13], s[2:3]
	v_addc_co_u32_e32 v17, vcc, v11, v1, vcc
	global_store_dwordx2 v[16:17], v[14:15], off
	v_add_co_u32_e32 v16, vcc, s4, v16
	s_waitcnt vmcnt(1) lgkmcnt(0)
	v_mul_f32_e32 v0, v19, v5
	v_fmac_f32_e32 v0, v18, v4
	v_cvt_f32_f64_e32 v14, v[8:9]
	v_cvt_f32_f64_e32 v15, v[12:13]
	v_cvt_f64_f32_e32 v[10:11], v0
	v_addc_co_u32_e32 v17, vcc, v17, v1, vcc
	global_store_dwordx2 v[16:17], v[14:15], off
	v_mul_f64 v[12:13], v[10:11], s[2:3]
	ds_read2_b64 v[8:11], v125 offset0:90 offset1:146
	buffer_load_dword v14, off, s[20:23], 0 offset:160 ; 4-byte Folded Reload
	buffer_load_dword v15, off, s[20:23], 0 offset:164 ; 4-byte Folded Reload
	v_mul_f32_e32 v0, v19, v4
	v_fma_f32 v0, v18, v5, -v0
	v_cvt_f64_f32_e32 v[4:5], v0
	v_add_co_u32_e32 v20, vcc, s7, v16
	v_cvt_f32_f64_e32 v18, v[12:13]
	v_mul_f64 v[4:5], v[4:5], s[2:3]
	v_cvt_f32_f64_e32 v19, v[4:5]
	s_waitcnt vmcnt(0) lgkmcnt(0)
	v_mul_f32_e32 v0, v15, v9
	v_fmac_f32_e32 v0, v14, v8
	v_cvt_f64_f32_e32 v[12:13], v0
	v_mul_f32_e32 v0, v15, v8
	v_fma_f32 v0, v14, v9, -v0
	v_cvt_f64_f32_e32 v[8:9], v0
	v_mov_b32_e32 v0, s6
	v_addc_co_u32_e32 v21, vcc, v17, v0, vcc
	global_store_dwordx2 v[20:21], v[18:19], off
	v_mul_f64 v[4:5], v[12:13], s[2:3]
	ds_read2_b64 v[12:15], v123 offset0:68 offset1:124
	buffer_load_dword v16, off, s[20:23], 0 offset:144 ; 4-byte Folded Reload
	buffer_load_dword v17, off, s[20:23], 0 offset:148 ; 4-byte Folded Reload
	v_mul_f64 v[8:9], v[8:9], s[2:3]
	v_add_co_u32_e32 v20, vcc, s4, v20
	v_addc_co_u32_e32 v21, vcc, v21, v1, vcc
	v_cvt_f32_f64_e32 v4, v[4:5]
	v_cvt_f32_f64_e32 v5, v[8:9]
	s_waitcnt vmcnt(0) lgkmcnt(0)
	v_mul_f32_e32 v0, v17, v13
	v_fmac_f32_e32 v0, v16, v12
	v_cvt_f64_f32_e32 v[8:9], v0
	v_mul_f32_e32 v0, v17, v12
	v_fma_f32 v0, v16, v13, -v0
	ds_read2_b64 v[16:19], v122 offset0:46 offset1:102
	buffer_load_dword v24, off, s[20:23], 0 offset:120 ; 4-byte Folded Reload
	buffer_load_dword v25, off, s[20:23], 0 offset:124 ; 4-byte Folded Reload
	v_cvt_f64_f32_e32 v[12:13], v0
	v_mul_f64 v[8:9], v[8:9], s[2:3]
	global_store_dwordx2 v[20:21], v[4:5], off
	v_mul_f64 v[12:13], v[12:13], s[2:3]
	v_cvt_f32_f64_e32 v4, v[8:9]
	v_cvt_f32_f64_e32 v5, v[12:13]
	v_add_co_u32_e32 v12, vcc, s4, v20
	v_addc_co_u32_e32 v13, vcc, v21, v1, vcc
	global_store_dwordx2 v[12:13], v[4:5], off
	v_add_co_u32_e32 v12, vcc, s4, v12
	v_addc_co_u32_e32 v13, vcc, v13, v1, vcc
	s_waitcnt vmcnt(2) lgkmcnt(0)
	v_mul_f32_e32 v0, v25, v17
	v_fmac_f32_e32 v0, v24, v16
	v_cvt_f64_f32_e32 v[22:23], v0
	v_mul_f32_e32 v0, v25, v16
	v_fma_f32 v0, v24, v17, -v0
	v_cvt_f64_f32_e32 v[16:17], v0
	v_mul_f64 v[8:9], v[22:23], s[2:3]
	v_mul_f64 v[16:17], v[16:17], s[2:3]
	v_cvt_f32_f64_e32 v4, v[8:9]
	v_cvt_f32_f64_e32 v5, v[16:17]
	buffer_load_dword v16, off, s[20:23], 0 offset:56 ; 4-byte Folded Reload
	buffer_load_dword v17, off, s[20:23], 0 offset:60 ; 4-byte Folded Reload
	s_waitcnt vmcnt(0)
	v_mul_f32_e32 v0, v17, v7
	v_fmac_f32_e32 v0, v16, v6
	v_cvt_f64_f32_e32 v[8:9], v0
	v_mul_f32_e32 v0, v17, v6
	global_store_dwordx2 v[12:13], v[4:5], off
	v_fma_f32 v0, v16, v7, -v0
	buffer_load_dword v16, off, s[20:23], 0 offset:104 ; 4-byte Folded Reload
	buffer_load_dword v17, off, s[20:23], 0 offset:108 ; 4-byte Folded Reload
	v_cvt_f64_f32_e32 v[6:7], v0
	v_mul_f64 v[4:5], v[8:9], s[2:3]
	v_mul_f64 v[6:7], v[6:7], s[2:3]
	v_cvt_f32_f64_e32 v4, v[4:5]
	v_cvt_f32_f64_e32 v5, v[6:7]
	s_waitcnt vmcnt(0)
	v_mul_f32_e32 v0, v17, v11
	v_fmac_f32_e32 v0, v16, v10
	v_cvt_f64_f32_e32 v[8:9], v0
	v_mul_f32_e32 v0, v17, v10
	v_fma_f32 v0, v16, v11, -v0
	v_cvt_f64_f32_e32 v[10:11], v0
	v_mul_f64 v[6:7], v[8:9], s[2:3]
	v_mov_b32_e32 v0, s6
	v_mul_f64 v[8:9], v[10:11], s[2:3]
	v_add_co_u32_e32 v10, vcc, s7, v12
	v_addc_co_u32_e32 v11, vcc, v13, v0, vcc
	global_store_dwordx2 v[10:11], v[4:5], off
	v_cvt_f32_f64_e32 v4, v[6:7]
	v_add_co_u32_e32 v10, vcc, s4, v10
	v_cvt_f32_f64_e32 v5, v[8:9]
	buffer_load_dword v8, off, s[20:23], 0 offset:88 ; 4-byte Folded Reload
	buffer_load_dword v9, off, s[20:23], 0 offset:92 ; 4-byte Folded Reload
	v_addc_co_u32_e32 v11, vcc, v11, v1, vcc
	global_store_dwordx2 v[10:11], v[4:5], off
	buffer_load_dword v12, off, s[20:23], 0 offset:72 ; 4-byte Folded Reload
	buffer_load_dword v13, off, s[20:23], 0 offset:76 ; 4-byte Folded Reload
	v_add_co_u32_e32 v16, vcc, s4, v10
	v_addc_co_u32_e32 v17, vcc, v11, v1, vcc
	s_waitcnt vmcnt(3)
	v_mul_f32_e32 v0, v9, v15
	v_fmac_f32_e32 v0, v8, v14
	v_cvt_f64_f32_e32 v[6:7], v0
	v_mul_f32_e32 v0, v9, v14
	v_fma_f32 v0, v8, v15, -v0
	v_cvt_f64_f32_e32 v[8:9], v0
	v_mul_f64 v[4:5], v[6:7], s[2:3]
	s_waitcnt vmcnt(0)
	v_mul_f32_e32 v0, v13, v19
	v_fmac_f32_e32 v0, v12, v18
	v_mul_f64 v[6:7], v[8:9], s[2:3]
	v_cvt_f64_f32_e32 v[8:9], v0
	v_mul_f32_e32 v0, v13, v18
	v_fma_f32 v0, v12, v19, -v0
	v_cvt_f64_f32_e32 v[12:13], v0
	v_cvt_f32_f64_e32 v14, v[4:5]
	v_mul_f64 v[8:9], v[8:9], s[2:3]
	v_cvt_f32_f64_e32 v15, v[6:7]
	ds_read2_b64 v[4:7], v124 offset0:96 offset1:152
	buffer_load_dword v18, off, s[20:23], 0 offset:256 ; 4-byte Folded Reload
	buffer_load_dword v19, off, s[20:23], 0 offset:260 ; 4-byte Folded Reload
	v_mul_f64 v[12:13], v[12:13], s[2:3]
	global_store_dwordx2 v[16:17], v[14:15], off
	v_add_co_u32_e32 v16, vcc, s4, v16
	v_cvt_f32_f64_e32 v14, v[8:9]
	v_addc_co_u32_e32 v17, vcc, v17, v1, vcc
	v_add_co_u32_e32 v20, vcc, s7, v16
	v_cvt_f32_f64_e32 v15, v[12:13]
	global_store_dwordx2 v[16:17], v[14:15], off
	s_waitcnt vmcnt(2) lgkmcnt(0)
	v_mul_f32_e32 v0, v19, v5
	v_fmac_f32_e32 v0, v18, v4
	v_cvt_f64_f32_e32 v[10:11], v0
	v_mul_f32_e32 v0, v19, v4
	v_fma_f32 v0, v18, v5, -v0
	v_cvt_f64_f32_e32 v[4:5], v0
	v_add_u32_e32 v0, 0x1400, v255
	v_mul_f64 v[12:13], v[10:11], s[2:3]
	ds_read2_b64 v[8:11], v0 offset0:74 offset1:130
	buffer_load_dword v14, off, s[20:23], 0 offset:232 ; 4-byte Folded Reload
	buffer_load_dword v15, off, s[20:23], 0 offset:236 ; 4-byte Folded Reload
	v_mul_f64 v[4:5], v[4:5], s[2:3]
	v_cvt_f32_f64_e32 v18, v[12:13]
	v_cvt_f32_f64_e32 v19, v[4:5]
	s_waitcnt vmcnt(0) lgkmcnt(0)
	v_mul_f32_e32 v0, v15, v9
	v_fmac_f32_e32 v0, v14, v8
	v_cvt_f64_f32_e32 v[12:13], v0
	v_mul_f32_e32 v0, v15, v8
	v_fma_f32 v0, v14, v9, -v0
	v_cvt_f64_f32_e32 v[8:9], v0
	v_mov_b32_e32 v0, s6
	v_addc_co_u32_e32 v21, vcc, v17, v0, vcc
	global_store_dwordx2 v[20:21], v[18:19], off
	v_mul_f64 v[4:5], v[12:13], s[2:3]
	ds_read2_b64 v[12:15], v123 offset0:180 offset1:236
	buffer_load_dword v16, off, s[20:23], 0 offset:208 ; 4-byte Folded Reload
	buffer_load_dword v17, off, s[20:23], 0 offset:212 ; 4-byte Folded Reload
	v_mul_f64 v[8:9], v[8:9], s[2:3]
	v_add_co_u32_e32 v20, vcc, s4, v20
	v_addc_co_u32_e32 v21, vcc, v21, v1, vcc
	v_cvt_f32_f64_e32 v4, v[4:5]
	v_cvt_f32_f64_e32 v5, v[8:9]
	s_waitcnt vmcnt(0) lgkmcnt(0)
	v_mul_f32_e32 v0, v17, v13
	v_fmac_f32_e32 v0, v16, v12
	v_cvt_f64_f32_e32 v[8:9], v0
	v_mul_f32_e32 v0, v17, v12
	v_fma_f32 v0, v16, v13, -v0
	ds_read2_b64 v[16:19], v122 offset0:158 offset1:214
	buffer_load_dword v24, off, s[20:23], 0 offset:216 ; 4-byte Folded Reload
	buffer_load_dword v25, off, s[20:23], 0 offset:220 ; 4-byte Folded Reload
	v_cvt_f64_f32_e32 v[12:13], v0
	v_mul_f64 v[8:9], v[8:9], s[2:3]
	global_store_dwordx2 v[20:21], v[4:5], off
	v_mul_f64 v[12:13], v[12:13], s[2:3]
	v_cvt_f32_f64_e32 v4, v[8:9]
	v_cvt_f32_f64_e32 v5, v[12:13]
	v_add_co_u32_e32 v12, vcc, s4, v20
	v_addc_co_u32_e32 v13, vcc, v21, v1, vcc
	global_store_dwordx2 v[12:13], v[4:5], off
	v_add_co_u32_e32 v12, vcc, s4, v12
	v_addc_co_u32_e32 v13, vcc, v13, v1, vcc
	s_waitcnt vmcnt(2) lgkmcnt(0)
	v_mul_f32_e32 v0, v25, v17
	v_fmac_f32_e32 v0, v24, v16
	v_cvt_f64_f32_e32 v[22:23], v0
	v_mul_f32_e32 v0, v25, v16
	v_fma_f32 v0, v24, v17, -v0
	v_cvt_f64_f32_e32 v[16:17], v0
	v_mul_f64 v[8:9], v[22:23], s[2:3]
	v_mul_f64 v[16:17], v[16:17], s[2:3]
	v_cvt_f32_f64_e32 v4, v[8:9]
	v_cvt_f32_f64_e32 v5, v[16:17]
	buffer_load_dword v16, off, s[20:23], 0 offset:224 ; 4-byte Folded Reload
	buffer_load_dword v17, off, s[20:23], 0 offset:228 ; 4-byte Folded Reload
	s_waitcnt vmcnt(0)
	v_mul_f32_e32 v0, v17, v7
	v_fmac_f32_e32 v0, v16, v6
	v_cvt_f64_f32_e32 v[8:9], v0
	v_mul_f32_e32 v0, v17, v6
	global_store_dwordx2 v[12:13], v[4:5], off
	v_fma_f32 v0, v16, v7, -v0
	buffer_load_dword v16, off, s[20:23], 0 offset:40 ; 4-byte Folded Reload
	buffer_load_dword v17, off, s[20:23], 0 offset:44 ; 4-byte Folded Reload
	v_cvt_f64_f32_e32 v[6:7], v0
	v_mul_f64 v[4:5], v[8:9], s[2:3]
	v_mul_f64 v[6:7], v[6:7], s[2:3]
	v_cvt_f32_f64_e32 v4, v[4:5]
	v_cvt_f32_f64_e32 v5, v[6:7]
	s_waitcnt vmcnt(0)
	v_mul_f32_e32 v0, v17, v11
	v_fmac_f32_e32 v0, v16, v10
	v_cvt_f64_f32_e32 v[8:9], v0
	v_mul_f32_e32 v0, v17, v10
	v_fma_f32 v0, v16, v11, -v0
	v_cvt_f64_f32_e32 v[10:11], v0
	v_mul_f64 v[6:7], v[8:9], s[2:3]
	v_mov_b32_e32 v0, s6
	v_mul_f64 v[8:9], v[10:11], s[2:3]
	v_add_co_u32_e32 v10, vcc, s7, v12
	v_addc_co_u32_e32 v11, vcc, v13, v0, vcc
	global_store_dwordx2 v[10:11], v[4:5], off
	v_cvt_f32_f64_e32 v4, v[6:7]
	v_add_co_u32_e32 v10, vcc, s4, v10
	v_cvt_f32_f64_e32 v5, v[8:9]
	buffer_load_dword v8, off, s[20:23], 0 offset:112 ; 4-byte Folded Reload
	buffer_load_dword v9, off, s[20:23], 0 offset:116 ; 4-byte Folded Reload
	v_addc_co_u32_e32 v11, vcc, v11, v1, vcc
	global_store_dwordx2 v[10:11], v[4:5], off
	buffer_load_dword v12, off, s[20:23], 0 offset:136 ; 4-byte Folded Reload
	buffer_load_dword v13, off, s[20:23], 0 offset:140 ; 4-byte Folded Reload
	v_add_co_u32_e32 v16, vcc, s4, v10
	v_addc_co_u32_e32 v17, vcc, v11, v1, vcc
	s_waitcnt vmcnt(3)
	v_mul_f32_e32 v0, v9, v15
	v_fmac_f32_e32 v0, v8, v14
	v_cvt_f64_f32_e32 v[6:7], v0
	v_mul_f32_e32 v0, v9, v14
	v_fma_f32 v0, v8, v15, -v0
	v_cvt_f64_f32_e32 v[8:9], v0
	v_mul_f64 v[4:5], v[6:7], s[2:3]
	s_waitcnt vmcnt(0)
	v_mul_f32_e32 v0, v13, v19
	v_fmac_f32_e32 v0, v12, v18
	v_mul_f64 v[6:7], v[8:9], s[2:3]
	v_cvt_f64_f32_e32 v[8:9], v0
	v_mul_f32_e32 v0, v13, v18
	v_fma_f32 v0, v12, v19, -v0
	v_cvt_f64_f32_e32 v[12:13], v0
	v_cvt_f32_f64_e32 v14, v[4:5]
	v_mul_f64 v[8:9], v[8:9], s[2:3]
	v_cvt_f32_f64_e32 v15, v[6:7]
	ds_read2_b64 v[4:7], v121 offset0:80 offset1:136
	buffer_load_dword v18, off, s[20:23], 0 offset:152 ; 4-byte Folded Reload
	buffer_load_dword v19, off, s[20:23], 0 offset:156 ; 4-byte Folded Reload
	v_mul_f64 v[12:13], v[12:13], s[2:3]
	global_store_dwordx2 v[16:17], v[14:15], off
	v_add_co_u32_e32 v16, vcc, s4, v16
	v_cvt_f32_f64_e32 v14, v[8:9]
	v_addc_co_u32_e32 v17, vcc, v17, v1, vcc
	v_add_co_u32_e32 v20, vcc, s7, v16
	v_cvt_f32_f64_e32 v15, v[12:13]
	global_store_dwordx2 v[16:17], v[14:15], off
	s_waitcnt vmcnt(2) lgkmcnt(0)
	v_mul_f32_e32 v0, v19, v5
	v_fmac_f32_e32 v0, v18, v4
	v_cvt_f64_f32_e32 v[10:11], v0
	v_mul_f32_e32 v0, v19, v4
	v_fma_f32 v0, v18, v5, -v0
	v_cvt_f64_f32_e32 v[4:5], v0
	v_mul_f64 v[12:13], v[10:11], s[2:3]
	ds_read2_b64 v[8:11], v120 offset0:58 offset1:114
	buffer_load_dword v14, off, s[20:23], 0 offset:24 ; 4-byte Folded Reload
	buffer_load_dword v15, off, s[20:23], 0 offset:28 ; 4-byte Folded Reload
	v_mul_f64 v[4:5], v[4:5], s[2:3]
	v_cvt_f32_f64_e32 v18, v[12:13]
	v_cvt_f32_f64_e32 v19, v[4:5]
	s_waitcnt vmcnt(0) lgkmcnt(0)
	v_mul_f32_e32 v0, v15, v9
	v_fmac_f32_e32 v0, v14, v8
	v_cvt_f64_f32_e32 v[12:13], v0
	v_mul_f32_e32 v0, v15, v8
	v_fma_f32 v0, v14, v9, -v0
	v_cvt_f64_f32_e32 v[8:9], v0
	v_mov_b32_e32 v0, s6
	v_addc_co_u32_e32 v21, vcc, v17, v0, vcc
	global_store_dwordx2 v[20:21], v[18:19], off
	v_mul_f64 v[4:5], v[12:13], s[2:3]
	ds_read2_b64 v[12:15], v118 offset0:36 offset1:92
	buffer_load_dword v16, off, s[20:23], 0 offset:32 ; 4-byte Folded Reload
	buffer_load_dword v17, off, s[20:23], 0 offset:36 ; 4-byte Folded Reload
	v_mul_f64 v[8:9], v[8:9], s[2:3]
	v_add_co_u32_e32 v20, vcc, s4, v20
	v_addc_co_u32_e32 v21, vcc, v21, v1, vcc
	v_cvt_f32_f64_e32 v4, v[4:5]
	v_cvt_f32_f64_e32 v5, v[8:9]
	s_waitcnt vmcnt(0) lgkmcnt(0)
	v_mul_f32_e32 v0, v17, v13
	v_fmac_f32_e32 v0, v16, v12
	v_cvt_f64_f32_e32 v[8:9], v0
	v_mul_f32_e32 v0, v17, v12
	v_fma_f32 v0, v16, v13, -v0
	ds_read2_b64 v[16:19], v119 offset0:14 offset1:70
	buffer_load_dword v24, off, s[20:23], 0 offset:96 ; 4-byte Folded Reload
	buffer_load_dword v25, off, s[20:23], 0 offset:100 ; 4-byte Folded Reload
	v_cvt_f64_f32_e32 v[12:13], v0
	v_mul_f64 v[8:9], v[8:9], s[2:3]
	global_store_dwordx2 v[20:21], v[4:5], off
	v_mul_f64 v[12:13], v[12:13], s[2:3]
	v_cvt_f32_f64_e32 v4, v[8:9]
	v_cvt_f32_f64_e32 v5, v[12:13]
	v_add_co_u32_e32 v12, vcc, s4, v20
	v_addc_co_u32_e32 v13, vcc, v21, v1, vcc
	global_store_dwordx2 v[12:13], v[4:5], off
	v_add_co_u32_e32 v12, vcc, s4, v12
	v_addc_co_u32_e32 v13, vcc, v13, v1, vcc
	s_waitcnt vmcnt(2) lgkmcnt(0)
	v_mul_f32_e32 v0, v25, v17
	v_fmac_f32_e32 v0, v24, v16
	v_cvt_f64_f32_e32 v[22:23], v0
	v_mul_f32_e32 v0, v25, v16
	v_fma_f32 v0, v24, v17, -v0
	v_cvt_f64_f32_e32 v[16:17], v0
	v_mul_f64 v[8:9], v[22:23], s[2:3]
	v_mul_f64 v[16:17], v[16:17], s[2:3]
	v_cvt_f32_f64_e32 v4, v[8:9]
	v_cvt_f32_f64_e32 v5, v[16:17]
	buffer_load_dword v16, off, s[20:23], 0 offset:64 ; 4-byte Folded Reload
	buffer_load_dword v17, off, s[20:23], 0 offset:68 ; 4-byte Folded Reload
	s_waitcnt vmcnt(0)
	v_mul_f32_e32 v0, v17, v7
	v_fmac_f32_e32 v0, v16, v6
	v_cvt_f64_f32_e32 v[8:9], v0
	v_mul_f32_e32 v0, v17, v6
	global_store_dwordx2 v[12:13], v[4:5], off
	v_fma_f32 v0, v16, v7, -v0
	buffer_load_dword v16, off, s[20:23], 0 offset:16 ; 4-byte Folded Reload
	buffer_load_dword v17, off, s[20:23], 0 offset:20 ; 4-byte Folded Reload
	v_cvt_f64_f32_e32 v[6:7], v0
	v_mul_f64 v[4:5], v[8:9], s[2:3]
	v_mul_f64 v[6:7], v[6:7], s[2:3]
	v_cvt_f32_f64_e32 v4, v[4:5]
	v_cvt_f32_f64_e32 v5, v[6:7]
	s_waitcnt vmcnt(0)
	v_mul_f32_e32 v0, v17, v11
	v_fmac_f32_e32 v0, v16, v10
	v_cvt_f64_f32_e32 v[8:9], v0
	v_mul_f32_e32 v0, v17, v10
	v_fma_f32 v0, v16, v11, -v0
	v_cvt_f64_f32_e32 v[10:11], v0
	v_mul_f64 v[6:7], v[8:9], s[2:3]
	v_mov_b32_e32 v0, s6
	v_mul_f64 v[8:9], v[10:11], s[2:3]
	v_add_co_u32_e32 v10, vcc, s7, v12
	v_addc_co_u32_e32 v11, vcc, v13, v0, vcc
	global_store_dwordx2 v[10:11], v[4:5], off
	v_cvt_f32_f64_e32 v4, v[6:7]
	v_add_co_u32_e32 v10, vcc, s4, v10
	v_cvt_f32_f64_e32 v5, v[8:9]
	buffer_load_dword v8, off, s[20:23], 0 offset:8 ; 4-byte Folded Reload
	buffer_load_dword v9, off, s[20:23], 0 offset:12 ; 4-byte Folded Reload
	v_addc_co_u32_e32 v11, vcc, v11, v1, vcc
	s_waitcnt vmcnt(0)
	v_mul_f32_e32 v0, v9, v15
	v_fmac_f32_e32 v0, v8, v14
	v_cvt_f64_f32_e32 v[6:7], v0
	v_mul_f32_e32 v0, v9, v14
	v_fma_f32 v0, v8, v15, -v0
	buffer_load_dword v14, off, s[20:23], 0 offset:48 ; 4-byte Folded Reload
	buffer_load_dword v15, off, s[20:23], 0 offset:52 ; 4-byte Folded Reload
	v_cvt_f64_f32_e32 v[8:9], v0
	v_mul_f64 v[6:7], v[6:7], s[2:3]
	global_store_dwordx2 v[10:11], v[4:5], off
	v_mul_f64 v[8:9], v[8:9], s[2:3]
	v_cvt_f32_f64_e32 v4, v[6:7]
	v_cvt_f32_f64_e32 v5, v[8:9]
	v_add_co_u32_e32 v8, vcc, s4, v10
	v_addc_co_u32_e32 v9, vcc, v11, v1, vcc
	global_store_dwordx2 v[8:9], v[4:5], off
	s_waitcnt vmcnt(2)
	v_mul_f32_e32 v0, v15, v19
	v_fmac_f32_e32 v0, v14, v18
	v_cvt_f64_f32_e32 v[12:13], v0
	v_mul_f32_e32 v0, v15, v18
	v_fma_f32 v0, v14, v19, -v0
	v_cvt_f64_f32_e32 v[14:15], v0
	v_mul_f64 v[6:7], v[12:13], s[2:3]
	v_add_co_u32_e32 v0, vcc, s4, v8
	v_mul_f64 v[12:13], v[14:15], s[2:3]
	v_addc_co_u32_e32 v1, vcc, v9, v1, vcc
	v_cvt_f32_f64_e32 v4, v[6:7]
	v_cvt_f32_f64_e32 v5, v[12:13]
	global_store_dwordx2 v[0:1], v[4:5], off
	buffer_load_dword v17, off, s[20:23], 0 ; 4-byte Folded Reload
	buffer_load_dword v18, off, s[20:23], 0 offset:4 ; 4-byte Folded Reload
	s_mov_b64 exec, s[0:1]
	s_cbranch_execz .LBB0_23
; %bb.22:
	global_load_dwordx2 v[4:5], v[184:185], off offset:3584
	ds_read_b64 v[8:9], v255 offset:3584
	ds_read_b64 v[10:11], v255 offset:7504
	;; [unrolled: 1-line block ×4, first 2 shown]
	s_waitcnt vmcnt(2)
	v_mad_u64_u32 v[6:7], s[0:1], s8, v17, 0
	s_mul_i32 s6, s9, 0xffffe320
	s_waitcnt vmcnt(0) lgkmcnt(3)
	v_mul_f32_e32 v16, v9, v5
	v_mul_f32_e32 v5, v8, v5
	v_fmac_f32_e32 v16, v8, v4
	v_fma_f32 v8, v4, v9, -v5
	v_cvt_f64_f32_e32 v[4:5], v16
	v_cvt_f64_f32_e32 v[8:9], v8
	v_mul_f64 v[4:5], v[4:5], s[2:3]
	v_mad_u64_u32 v[16:17], s[0:1], s9, v17, v[7:8]
	v_mul_f64 v[8:9], v[8:9], s[2:3]
	v_add_co_u32_e32 v17, vcc, s12, v184
	v_mov_b32_e32 v7, v16
	v_lshlrev_b64 v[6:7], 3, v[6:7]
	v_cvt_f32_f64_e32 v4, v[4:5]
	v_addc_co_u32_e32 v18, vcc, 0, v185, vcc
	v_cvt_f32_f64_e32 v5, v[8:9]
	v_add_co_u32_e32 v2, vcc, v2, v6
	v_addc_co_u32_e32 v3, vcc, v3, v7, vcc
	global_store_dwordx2 v[2:3], v[4:5], off
	global_load_dwordx2 v[2:3], v[17:18], off offset:3408
	v_mov_b32_e32 v6, 0xffffe320
	v_mad_u64_u32 v[0:1], s[0:1], s8, v6, v[0:1]
	s_sub_i32 s0, s6, s8
	v_mov_b32_e32 v8, s5
	v_add_u32_e32 v1, s0, v1
	s_waitcnt vmcnt(0) lgkmcnt(2)
	v_mul_f32_e32 v4, v11, v3
	v_mul_f32_e32 v3, v10, v3
	v_fmac_f32_e32 v4, v10, v2
	v_fma_f32 v5, v2, v11, -v3
	v_cvt_f64_f32_e32 v[2:3], v4
	v_cvt_f64_f32_e32 v[4:5], v5
	v_mul_f64 v[2:3], v[2:3], s[2:3]
	v_mul_f64 v[4:5], v[4:5], s[2:3]
	v_cvt_f32_f64_e32 v2, v[2:3]
	v_cvt_f32_f64_e32 v3, v[4:5]
	v_add_co_u32_e32 v4, vcc, s11, v184
	v_addc_co_u32_e32 v5, vcc, 0, v185, vcc
	global_store_dwordx2 v[0:1], v[2:3], off
	global_load_dwordx2 v[2:3], v[4:5], off offset:3232
	v_add_co_u32_e32 v6, vcc, s10, v184
	v_addc_co_u32_e32 v7, vcc, 0, v185, vcc
	v_add_co_u32_e32 v0, vcc, s4, v0
	v_addc_co_u32_e32 v1, vcc, v1, v8, vcc
	s_waitcnt vmcnt(0) lgkmcnt(1)
	v_mul_f32_e32 v4, v13, v3
	v_mul_f32_e32 v3, v12, v3
	v_fmac_f32_e32 v4, v12, v2
	v_fma_f32 v5, v2, v13, -v3
	v_cvt_f64_f32_e32 v[2:3], v4
	v_cvt_f64_f32_e32 v[4:5], v5
	v_mul_f64 v[2:3], v[2:3], s[2:3]
	v_mul_f64 v[4:5], v[4:5], s[2:3]
	v_cvt_f32_f64_e32 v2, v[2:3]
	v_cvt_f32_f64_e32 v3, v[4:5]
	global_store_dwordx2 v[0:1], v[2:3], off
	global_load_dwordx2 v[2:3], v[6:7], off offset:3056
	v_add_co_u32_e32 v0, vcc, s4, v0
	v_addc_co_u32_e32 v1, vcc, v1, v8, vcc
	s_waitcnt vmcnt(0) lgkmcnt(0)
	v_mul_f32_e32 v4, v15, v3
	v_mul_f32_e32 v3, v14, v3
	v_fmac_f32_e32 v4, v14, v2
	v_fma_f32 v5, v2, v15, -v3
	v_cvt_f64_f32_e32 v[2:3], v4
	v_cvt_f64_f32_e32 v[4:5], v5
	v_mul_f64 v[2:3], v[2:3], s[2:3]
	v_mul_f64 v[4:5], v[4:5], s[2:3]
	v_cvt_f32_f64_e32 v2, v[2:3]
	v_cvt_f32_f64_e32 v3, v[4:5]
	global_store_dwordx2 v[0:1], v[2:3], off
.LBB0_23:
	s_endpgm
	.section	.rodata,"a",@progbits
	.p2align	6, 0x0
	.amdhsa_kernel bluestein_single_fwd_len1960_dim1_sp_op_CI_CI
		.amdhsa_group_segment_fixed_size 15680
		.amdhsa_private_segment_fixed_size 404
		.amdhsa_kernarg_size 104
		.amdhsa_user_sgpr_count 6
		.amdhsa_user_sgpr_private_segment_buffer 1
		.amdhsa_user_sgpr_dispatch_ptr 0
		.amdhsa_user_sgpr_queue_ptr 0
		.amdhsa_user_sgpr_kernarg_segment_ptr 1
		.amdhsa_user_sgpr_dispatch_id 0
		.amdhsa_user_sgpr_flat_scratch_init 0
		.amdhsa_user_sgpr_private_segment_size 0
		.amdhsa_uses_dynamic_stack 0
		.amdhsa_system_sgpr_private_segment_wavefront_offset 1
		.amdhsa_system_sgpr_workgroup_id_x 1
		.amdhsa_system_sgpr_workgroup_id_y 0
		.amdhsa_system_sgpr_workgroup_id_z 0
		.amdhsa_system_sgpr_workgroup_info 0
		.amdhsa_system_vgpr_workitem_id 0
		.amdhsa_next_free_vgpr 256
		.amdhsa_next_free_sgpr 24
		.amdhsa_reserve_vcc 1
		.amdhsa_reserve_flat_scratch 0
		.amdhsa_float_round_mode_32 0
		.amdhsa_float_round_mode_16_64 0
		.amdhsa_float_denorm_mode_32 3
		.amdhsa_float_denorm_mode_16_64 3
		.amdhsa_dx10_clamp 1
		.amdhsa_ieee_mode 1
		.amdhsa_fp16_overflow 0
		.amdhsa_exception_fp_ieee_invalid_op 0
		.amdhsa_exception_fp_denorm_src 0
		.amdhsa_exception_fp_ieee_div_zero 0
		.amdhsa_exception_fp_ieee_overflow 0
		.amdhsa_exception_fp_ieee_underflow 0
		.amdhsa_exception_fp_ieee_inexact 0
		.amdhsa_exception_int_div_zero 0
	.end_amdhsa_kernel
	.text
.Lfunc_end0:
	.size	bluestein_single_fwd_len1960_dim1_sp_op_CI_CI, .Lfunc_end0-bluestein_single_fwd_len1960_dim1_sp_op_CI_CI
                                        ; -- End function
	.section	.AMDGPU.csdata,"",@progbits
; Kernel info:
; codeLenInByte = 35648
; NumSgprs: 28
; NumVgprs: 256
; ScratchSize: 404
; MemoryBound: 0
; FloatMode: 240
; IeeeMode: 1
; LDSByteSize: 15680 bytes/workgroup (compile time only)
; SGPRBlocks: 3
; VGPRBlocks: 63
; NumSGPRsForWavesPerEU: 28
; NumVGPRsForWavesPerEU: 256
; Occupancy: 1
; WaveLimiterHint : 1
; COMPUTE_PGM_RSRC2:SCRATCH_EN: 1
; COMPUTE_PGM_RSRC2:USER_SGPR: 6
; COMPUTE_PGM_RSRC2:TRAP_HANDLER: 0
; COMPUTE_PGM_RSRC2:TGID_X_EN: 1
; COMPUTE_PGM_RSRC2:TGID_Y_EN: 0
; COMPUTE_PGM_RSRC2:TGID_Z_EN: 0
; COMPUTE_PGM_RSRC2:TIDIG_COMP_CNT: 0
	.type	__hip_cuid_7f37b71d699645c5,@object ; @__hip_cuid_7f37b71d699645c5
	.section	.bss,"aw",@nobits
	.globl	__hip_cuid_7f37b71d699645c5
__hip_cuid_7f37b71d699645c5:
	.byte	0                               ; 0x0
	.size	__hip_cuid_7f37b71d699645c5, 1

	.ident	"AMD clang version 19.0.0git (https://github.com/RadeonOpenCompute/llvm-project roc-6.4.0 25133 c7fe45cf4b819c5991fe208aaa96edf142730f1d)"
	.section	".note.GNU-stack","",@progbits
	.addrsig
	.addrsig_sym __hip_cuid_7f37b71d699645c5
	.amdgpu_metadata
---
amdhsa.kernels:
  - .args:
      - .actual_access:  read_only
        .address_space:  global
        .offset:         0
        .size:           8
        .value_kind:     global_buffer
      - .actual_access:  read_only
        .address_space:  global
        .offset:         8
        .size:           8
        .value_kind:     global_buffer
      - .actual_access:  read_only
        .address_space:  global
        .offset:         16
        .size:           8
        .value_kind:     global_buffer
      - .actual_access:  read_only
        .address_space:  global
        .offset:         24
        .size:           8
        .value_kind:     global_buffer
      - .actual_access:  read_only
        .address_space:  global
        .offset:         32
        .size:           8
        .value_kind:     global_buffer
      - .offset:         40
        .size:           8
        .value_kind:     by_value
      - .address_space:  global
        .offset:         48
        .size:           8
        .value_kind:     global_buffer
      - .address_space:  global
        .offset:         56
        .size:           8
        .value_kind:     global_buffer
      - .address_space:  global
        .offset:         64
        .size:           8
        .value_kind:     global_buffer
      - .address_space:  global
        .offset:         72
        .size:           8
        .value_kind:     global_buffer
      - .offset:         80
        .size:           4
        .value_kind:     by_value
      - .address_space:  global
        .offset:         88
        .size:           8
        .value_kind:     global_buffer
      - .address_space:  global
        .offset:         96
        .size:           8
        .value_kind:     global_buffer
    .group_segment_fixed_size: 15680
    .kernarg_segment_align: 8
    .kernarg_segment_size: 104
    .language:       OpenCL C
    .language_version:
      - 2
      - 0
    .max_flat_workgroup_size: 56
    .name:           bluestein_single_fwd_len1960_dim1_sp_op_CI_CI
    .private_segment_fixed_size: 404
    .sgpr_count:     28
    .sgpr_spill_count: 0
    .symbol:         bluestein_single_fwd_len1960_dim1_sp_op_CI_CI.kd
    .uniform_work_group_size: 1
    .uses_dynamic_stack: false
    .vgpr_count:     256
    .vgpr_spill_count: 100
    .wavefront_size: 64
amdhsa.target:   amdgcn-amd-amdhsa--gfx906
amdhsa.version:
  - 1
  - 2
...

	.end_amdgpu_metadata
